;; amdgpu-corpus repo=ROCm/rocFFT kind=compiled arch=gfx1030 opt=O3
	.text
	.amdgcn_target "amdgcn-amd-amdhsa--gfx1030"
	.amdhsa_code_object_version 6
	.protected	bluestein_single_fwd_len3072_dim1_dp_op_CI_CI ; -- Begin function bluestein_single_fwd_len3072_dim1_dp_op_CI_CI
	.globl	bluestein_single_fwd_len3072_dim1_dp_op_CI_CI
	.p2align	8
	.type	bluestein_single_fwd_len3072_dim1_dp_op_CI_CI,@function
bluestein_single_fwd_len3072_dim1_dp_op_CI_CI: ; @bluestein_single_fwd_len3072_dim1_dp_op_CI_CI
; %bb.0:
	s_load_dwordx4 s[16:19], s[4:5], 0x28
	s_mov_b64 s[22:23], s[2:3]
	s_mov_b64 s[20:21], s[0:1]
	s_mov_b32 s1, exec_lo
	s_add_u32 s20, s20, s7
	s_addc_u32 s21, s21, 0
	s_mov_b32 s7, 0
	s_waitcnt lgkmcnt(0)
	v_cmpx_lt_u64_e64 s[6:7], s[16:17]
	s_cbranch_execz .LBB0_2
; %bb.1:
	s_clause 0x1
	s_load_dwordx4 s[0:3], s[4:5], 0x18
	s_load_dwordx4 s[8:11], s[4:5], 0x0
	v_mov_b32_e32 v218, s7
	v_lshlrev_b32_e32 v218, 4, v0
	v_mov_b32_e32 v217, s6
	v_or_b32_e32 v67, 0x200, v0
	v_or_b32_e32 v137, 0x100, v0
	v_mov_b32_e32 v138, 0
	v_or_b32_e32 v17, 0x6000, v218
	v_or_b32_e32 v21, 0x8000, v218
	v_lshlrev_b32_e32 v229, 4, v67
	v_or_b32_e32 v254, 0x3000, v218
	v_or_b32_e32 v255, 0x5000, v218
	;; [unrolled: 1-line block ×4, first 2 shown]
	s_waitcnt lgkmcnt(0)
	s_load_dwordx4 s[12:15], s[0:1], 0x0
	global_load_dwordx4 v[29:32], v218, s[8:9]
	s_add_u32 s6, s8, 0xc000
	s_addc_u32 s7, s9, 0
	s_waitcnt lgkmcnt(0)
	v_mad_u64_u32 v[1:2], null, s14, v217, 0
	v_mad_u64_u32 v[3:4], null, s12, v0, 0
	s_lshl_b64 s[0:1], s[12:13], 13
	v_mad_u64_u32 v[5:6], null, s15, v217, v[2:3]
	v_mad_u64_u32 v[6:7], null, s13, v0, v[4:5]
	v_mov_b32_e32 v2, v5
	s_mul_i32 s13, s13, 0xffff7000
	v_lshlrev_b64 v[1:2], 4, v[1:2]
	v_mov_b32_e32 v4, v6
	v_add_co_u32 v1, vcc_lo, s18, v1
	v_lshlrev_b64 v[3:4], 4, v[3:4]
	v_add_co_ci_u32_e32 v2, vcc_lo, s19, v2, vcc_lo
	v_add_co_u32 v1, vcc_lo, v1, v3
	v_add_co_ci_u32_e32 v2, vcc_lo, v2, v4, vcc_lo
	v_add_co_u32 v3, vcc_lo, v1, s0
	global_load_dwordx4 v[9:12], v[1:2], off
	v_or_b32_e32 v1, 0x4000, v218
	v_add_co_ci_u32_e32 v4, vcc_lo, s1, v2, vcc_lo
	global_load_dwordx4 v[33:36], v229, s[8:9]
	global_load_dwordx4 v[13:16], v[3:4], off
	s_clause 0x1
	global_load_dwordx4 v[61:64], v1, s[8:9]
	global_load_dwordx4 v[68:71], v17, s[8:9]
	v_add_co_u32 v1, vcc_lo, v3, s0
	v_add_co_ci_u32_e32 v2, vcc_lo, s1, v4, vcc_lo
	v_add_co_u32 v3, vcc_lo, v1, s0
	v_add_co_ci_u32_e32 v4, vcc_lo, s1, v2, vcc_lo
	global_load_dwordx4 v[17:20], v[1:2], off
	v_add_co_u32 v1, vcc_lo, v3, s0
	v_add_co_ci_u32_e32 v2, vcc_lo, s1, v4, vcc_lo
	global_load_dwordx4 v[37:40], v[3:4], off
	global_load_dwordx4 v[45:48], v21, s[8:9]
	global_load_dwordx4 v[41:44], v[1:2], off
	v_add_co_u32 v1, vcc_lo, v1, s0
	v_add_co_ci_u32_e32 v2, vcc_lo, s1, v2, vcc_lo
	v_or_b32_e32 v3, 0xa000, v218
	global_load_dwordx4 v[49:52], v[1:2], off
	global_load_dwordx4 v[72:75], v3, s[8:9]
	v_mad_u64_u32 v[1:2], null, 0xffff7000, s12, v[1:2]
	s_sub_i32 s12, s13, s12
	s_mov_b32 s13, 0xbfebb67a
	s_waitcnt vmcnt(11)
	buffer_store_dword v29, off, s[20:23], 0 offset:144 ; 4-byte Folded Spill
	buffer_store_dword v30, off, s[20:23], 0 offset:148 ; 4-byte Folded Spill
	;; [unrolled: 1-line block ×4, first 2 shown]
	v_add_nc_u32_e32 v2, s12, v2
	s_waitcnt vmcnt(8)
	v_mul_f64 v[7:8], v[15:16], v[35:36]
	v_mul_f64 v[21:22], v[13:14], v[35:36]
	buffer_store_dword v33, off, s[20:23], 0 offset:112 ; 4-byte Folded Spill
	buffer_store_dword v34, off, s[20:23], 0 offset:116 ; 4-byte Folded Spill
	;; [unrolled: 1-line block ×4, first 2 shown]
	s_waitcnt vmcnt(5)
	v_mul_f64 v[23:24], v[19:20], v[63:64]
	v_mul_f64 v[25:26], v[17:18], v[63:64]
	s_waitcnt vmcnt(4)
	v_mul_f64 v[27:28], v[39:40], v[70:71]
	v_mul_f64 v[3:4], v[11:12], v[31:32]
	;; [unrolled: 1-line block ×3, first 2 shown]
	v_fma_f64 v[53:54], v[9:10], v[29:30], v[3:4]
	v_fma_f64 v[55:56], v[11:12], v[29:30], -v[5:6]
	v_mov_b32_e32 v9, v61
	v_mov_b32_e32 v10, v62
	;; [unrolled: 1-line block ×4, first 2 shown]
	buffer_store_dword v9, off, s[20:23], 0 offset:128 ; 4-byte Folded Spill
	buffer_store_dword v10, off, s[20:23], 0 offset:132 ; 4-byte Folded Spill
	;; [unrolled: 1-line block ×4, first 2 shown]
	v_mul_f64 v[3:4], v[37:38], v[70:71]
	s_waitcnt vmcnt(2)
	v_mul_f64 v[5:6], v[43:44], v[47:48]
	v_fma_f64 v[57:58], v[13:14], v[33:34], v[7:8]
	v_fma_f64 v[59:60], v[15:16], v[33:34], -v[21:22]
	v_mov_b32_e32 v13, v45
	v_mov_b32_e32 v14, v46
	;; [unrolled: 1-line block ×4, first 2 shown]
	v_mul_f64 v[7:8], v[41:42], v[47:48]
	v_fma_f64 v[61:62], v[17:18], v[9:10], v[23:24]
	v_fma_f64 v[63:64], v[19:20], v[9:10], -v[25:26]
	v_mov_b32_e32 v9, v68
	v_lshlrev_b32_e32 v17, 4, v137
	v_mov_b32_e32 v10, v69
	v_mov_b32_e32 v11, v70
	;; [unrolled: 1-line block ×3, first 2 shown]
	buffer_store_dword v17, off, s[20:23], 0 offset:160 ; 4-byte Folded Spill
	buffer_store_dword v9, off, s[20:23], 0 offset:96 ; 4-byte Folded Spill
	;; [unrolled: 1-line block ×5, first 2 shown]
	global_load_dwordx4 v[45:48], v17, s[8:9]
	v_fma_f64 v[68:69], v[37:38], v[9:10], v[27:28]
	v_fma_f64 v[70:71], v[39:40], v[9:10], -v[3:4]
	s_waitcnt vmcnt(1)
	v_mov_b32_e32 v9, v72
	v_mov_b32_e32 v10, v73
	;; [unrolled: 1-line block ×4, first 2 shown]
	buffer_store_dword v9, off, s[20:23], 0 offset:64 ; 4-byte Folded Spill
	buffer_store_dword v10, off, s[20:23], 0 offset:68 ; 4-byte Folded Spill
	;; [unrolled: 1-line block ×8, first 2 shown]
	v_mul_f64 v[3:4], v[51:52], v[11:12]
	v_fma_f64 v[72:73], v[41:42], v[13:14], v[5:6]
	v_mul_f64 v[5:6], v[49:50], v[11:12]
	v_fma_f64 v[74:75], v[43:44], v[13:14], -v[7:8]
	v_fma_f64 v[49:50], v[49:50], v[9:10], v[3:4]
	v_fma_f64 v[51:52], v[51:52], v[9:10], -v[5:6]
	global_load_dwordx4 v[9:12], v[1:2], off
	v_add_co_u32 v1, vcc_lo, v1, s0
	v_add_co_ci_u32_e32 v2, vcc_lo, s1, v2, vcc_lo
	s_waitcnt vmcnt(0)
	v_mul_f64 v[3:4], v[11:12], v[47:48]
	v_mul_f64 v[5:6], v[9:10], v[47:48]
	v_fma_f64 v[76:77], v[9:10], v[45:46], v[3:4]
	v_fma_f64 v[78:79], v[11:12], v[45:46], -v[5:6]
	global_load_dwordx4 v[223:226], v254, s[8:9]
	global_load_dwordx4 v[9:12], v[1:2], off
	global_load_dwordx4 v[13:16], v255, s[8:9]
	v_add_co_u32 v1, vcc_lo, v1, s0
	v_add_co_ci_u32_e32 v2, vcc_lo, s1, v2, vcc_lo
	s_waitcnt vmcnt(0)
	buffer_store_dword v13, off, s[20:23], 0 offset:16 ; 4-byte Folded Spill
	buffer_store_dword v14, off, s[20:23], 0 offset:20 ; 4-byte Folded Spill
	;; [unrolled: 1-line block ×4, first 2 shown]
	v_mul_f64 v[3:4], v[11:12], v[225:226]
	v_mul_f64 v[5:6], v[9:10], v[225:226]
	v_fma_f64 v[80:81], v[9:10], v[223:224], v[3:4]
	v_fma_f64 v[82:83], v[11:12], v[223:224], -v[5:6]
	global_load_dwordx4 v[9:12], v[1:2], off
	v_add_co_u32 v1, vcc_lo, v1, s0
	v_add_co_ci_u32_e32 v2, vcc_lo, s1, v2, vcc_lo
	s_waitcnt vmcnt(0)
	v_mul_f64 v[3:4], v[11:12], v[15:16]
	v_mul_f64 v[5:6], v[9:10], v[15:16]
	v_fma_f64 v[84:85], v[9:10], v[13:14], v[3:4]
	v_or_b32_e32 v3, 0x7000, v218
	v_fma_f64 v[86:87], v[11:12], v[13:14], -v[5:6]
	global_load_dwordx4 v[13:16], v3, s[8:9]
	s_waitcnt vmcnt(0)
	buffer_store_dword v13, off, s[20:23], 0 offset:48 ; 4-byte Folded Spill
	buffer_store_dword v14, off, s[20:23], 0 offset:52 ; 4-byte Folded Spill
	;; [unrolled: 1-line block ×4, first 2 shown]
	global_load_dwordx4 v[9:12], v[1:2], off
	v_add_co_u32 v1, vcc_lo, v1, s0
	v_add_co_ci_u32_e32 v2, vcc_lo, s1, v2, vcc_lo
	s_waitcnt vmcnt(0)
	v_mul_f64 v[3:4], v[11:12], v[15:16]
	v_mul_f64 v[5:6], v[9:10], v[15:16]
	v_fma_f64 v[88:89], v[9:10], v[13:14], v[3:4]
	v_fma_f64 v[90:91], v[11:12], v[13:14], -v[5:6]
	global_load_dwordx4 v[13:16], v227, s[8:9]
	s_waitcnt vmcnt(0)
	buffer_store_dword v13, off, s[20:23], 0 offset:32 ; 4-byte Folded Spill
	buffer_store_dword v14, off, s[20:23], 0 offset:36 ; 4-byte Folded Spill
	;; [unrolled: 1-line block ×4, first 2 shown]
	global_load_dwordx4 v[9:12], v[1:2], off
	v_add_co_u32 v1, vcc_lo, v1, s0
	v_add_co_ci_u32_e32 v2, vcc_lo, s1, v2, vcc_lo
	v_cmp_gt_u64_e32 vcc_lo, 0x180, v[137:138]
	s_waitcnt vmcnt(0)
	v_mul_f64 v[5:6], v[9:10], v[15:16]
	v_mul_f64 v[3:4], v[11:12], v[15:16]
	v_fma_f64 v[94:95], v[11:12], v[13:14], -v[5:6]
	global_load_dwordx4 v[96:99], v[1:2], off
	global_load_dwordx4 v[5:8], v228, s[8:9]
	v_fma_f64 v[92:93], v[9:10], v[13:14], v[3:4]
	s_mov_b32 s8, 0xe8584caa
	s_mov_b32 s9, 0x3febb67a
	;; [unrolled: 1-line block ×3, first 2 shown]
	s_waitcnt vmcnt(0)
	buffer_store_dword v5, off, s[20:23], 0 ; 4-byte Folded Spill
	buffer_store_dword v6, off, s[20:23], 0 offset:4 ; 4-byte Folded Spill
	buffer_store_dword v7, off, s[20:23], 0 offset:8 ; 4-byte Folded Spill
	;; [unrolled: 1-line block ×3, first 2 shown]
	ds_write_b128 v218, v[53:56]
	ds_write_b128 v218, v[57:60] offset:8192
	ds_write_b128 v218, v[61:64] offset:16384
	;; [unrolled: 1-line block ×9, first 2 shown]
	s_load_dwordx4 s[0:3], s[2:3], 0x0
	v_mul_f64 v[1:2], v[98:99], v[7:8]
	v_mul_f64 v[3:4], v[96:97], v[7:8]
	v_fma_f64 v[96:97], v[96:97], v[5:6], v[1:2]
	v_fma_f64 v[98:99], v[98:99], v[5:6], -v[3:4]
	ds_write_b128 v218, v[92:95] offset:36864
	ds_write_b128 v218, v[96:99] offset:45056
	s_waitcnt lgkmcnt(0)
	s_waitcnt_vscnt null, 0x0
	s_barrier
	buffer_gl0_inv
	ds_read_b128 v[49:52], v218
	ds_read_b128 v[53:56], v218 offset:16384
	ds_read_b128 v[57:60], v218 offset:20480
	ds_read_b128 v[61:64], v218 offset:4096
	ds_read_b128 v[68:71], v218 offset:32768
	ds_read_b128 v[72:75], v218 offset:36864
	s_waitcnt lgkmcnt(4)
	v_add_f64 v[1:2], v[49:50], v[53:54]
	v_add_f64 v[3:4], v[51:52], v[55:56]
	s_waitcnt lgkmcnt(1)
	v_add_f64 v[5:6], v[53:54], v[68:69]
	v_add_f64 v[7:8], v[55:56], v[70:71]
	v_add_f64 v[9:10], v[55:56], -v[70:71]
	v_add_f64 v[11:12], v[53:54], -v[68:69]
	v_add_f64 v[25:26], v[61:62], v[57:58]
	s_waitcnt lgkmcnt(0)
	v_add_f64 v[29:30], v[57:58], v[72:73]
	v_add_f64 v[27:28], v[63:64], v[59:60]
	v_add_f64 v[35:36], v[57:58], -v[72:73]
	v_add_f64 v[31:32], v[59:60], v[74:75]
	v_add_f64 v[33:34], v[59:60], -v[74:75]
	v_add_f64 v[1:2], v[1:2], v[68:69]
	v_add_f64 v[3:4], v[3:4], v[70:71]
	ds_read_b128 v[53:56], v218 offset:8192
	ds_read_b128 v[68:71], v218 offset:24576
	;; [unrolled: 1-line block ×6, first 2 shown]
	v_fma_f64 v[5:6], v[5:6], -0.5, v[49:50]
	v_fma_f64 v[7:8], v[7:8], -0.5, v[51:52]
	v_add_f64 v[25:26], v[25:26], v[72:73]
	s_waitcnt lgkmcnt(0)
	v_add_f64 v[27:28], v[27:28], v[74:75]
	s_barrier
	buffer_gl0_inv
	v_add_f64 v[13:14], v[53:54], v[68:69]
	v_add_f64 v[15:16], v[55:56], v[70:71]
	v_add_f64 v[37:38], v[80:81], v[76:77]
	v_add_f64 v[19:20], v[70:71], v[86:87]
	v_add_f64 v[17:18], v[68:69], v[84:85]
	v_add_f64 v[23:24], v[68:69], -v[84:85]
	v_add_f64 v[39:40], v[82:83], v[78:79]
	v_add_f64 v[21:22], v[70:71], -v[86:87]
	v_add_f64 v[65:66], v[78:79], v[90:91]
	v_add_f64 v[68:69], v[76:77], v[88:89]
	;; [unrolled: 1-line block ×5, first 2 shown]
	v_fma_f64 v[19:20], v[19:20], -0.5, v[55:56]
	v_fma_f64 v[17:18], v[17:18], -0.5, v[53:54]
	v_add_f64 v[86:87], v[76:77], -v[88:89]
	v_add_f64 v[39:40], v[39:40], v[90:91]
	v_add_f64 v[84:85], v[78:79], -v[90:91]
	v_add_f64 v[53:54], v[1:2], v[13:14]
	v_add_f64 v[57:58], v[1:2], -v[13:14]
	v_fma_f64 v[13:14], v[29:30], -0.5, v[61:62]
	v_add_f64 v[49:50], v[25:26], v[37:38]
	v_add_f64 v[61:62], v[25:26], -v[37:38]
	v_mul_u32_u24_e32 v25, 6, v0
	v_add_f64 v[55:56], v[3:4], v[15:16]
	v_add_f64 v[59:60], v[3:4], -v[15:16]
	v_fma_f64 v[15:16], v[31:32], -0.5, v[63:64]
	v_add_f64 v[51:52], v[27:28], v[39:40]
	v_lshlrev_b32_e32 v231, 4, v25
	v_fma_f64 v[25:26], v[23:24], s[12:13], v[19:20]
	v_add_f64 v[63:64], v[27:28], -v[39:40]
	v_fma_f64 v[27:28], v[21:22], s[8:9], v[17:18]
	v_fma_f64 v[17:18], v[21:22], s[12:13], v[17:18]
	;; [unrolled: 1-line block ×3, first 2 shown]
	v_fma_f64 v[1:2], v[65:66], -0.5, v[82:83]
	v_fma_f64 v[31:32], v[11:12], s[12:13], v[7:8]
	v_fma_f64 v[7:8], v[11:12], s[8:9], v[7:8]
	v_fma_f64 v[3:4], v[68:69], -0.5, v[80:81]
	ds_write_b128 v231, v[53:56]
	ds_write_b128 v231, v[57:60] offset:48
	v_mul_f64 v[29:30], v[25:26], s[8:9]
	v_mul_f64 v[11:12], v[19:20], -0.5
	v_fma_f64 v[29:30], v[27:28], 0.5, v[29:30]
	v_mul_f64 v[27:28], v[27:28], s[12:13]
	v_fma_f64 v[11:12], v[17:18], s[12:13], v[11:12]
	v_fma_f64 v[25:26], v[25:26], 0.5, v[27:28]
	v_fma_f64 v[27:28], v[9:10], s[8:9], v[5:6]
	v_fma_f64 v[5:6], v[9:10], s[12:13], v[5:6]
	v_mul_f64 v[9:10], v[17:18], -0.5
	v_add_f64 v[70:71], v[7:8], v[11:12]
	v_add_f64 v[74:75], v[7:8], -v[11:12]
	v_fma_f64 v[7:8], v[84:85], s[8:9], v[3:4]
	v_fma_f64 v[3:4], v[84:85], s[12:13], v[3:4]
	;; [unrolled: 1-line block ×3, first 2 shown]
	v_add_f64 v[55:56], v[31:32], v[25:26]
	v_add_f64 v[53:54], v[27:28], v[29:30]
	v_add_f64 v[57:58], v[27:28], -v[29:30]
	v_fma_f64 v[9:10], v[19:20], s[8:9], v[9:10]
	v_add_f64 v[59:60], v[31:32], -v[25:26]
	v_mul_u32_u24_e32 v25, 0x2aab, v67
	v_lshrrev_b32_e32 v43, 16, v25
	v_mul_lo_u16 v25, v43, 6
	v_sub_nc_u16 v44, v67, v25
	v_add_f64 v[68:69], v[5:6], v[9:10]
	v_add_f64 v[72:73], v[5:6], -v[9:10]
	v_fma_f64 v[5:6], v[86:87], s[12:13], v[1:2]
	v_fma_f64 v[1:2], v[86:87], s[8:9], v[1:2]
	ds_write_b128 v231, v[53:56] offset:16
	ds_write_b128 v231, v[68:71] offset:32
	;; [unrolled: 1-line block ×4, first 2 shown]
	v_mul_lo_u16 v68, 0xab, v0
	v_mul_lo_u16 v25, v44, 48
	v_mul_f64 v[9:10], v[5:6], s[8:9]
	v_mov_b32_e32 v69, 4
	v_lshrrev_b16 v59, 10, v68
	v_and_b32_e32 v25, 0xffff, v25
	v_fma_f64 v[9:10], v[7:8], 0.5, v[9:10]
	v_mul_f64 v[7:8], v[7:8], s[12:13]
	v_fma_f64 v[5:6], v[5:6], 0.5, v[7:8]
	v_fma_f64 v[7:8], v[33:34], s[8:9], v[13:14]
	v_add_f64 v[78:79], v[11:12], v[5:6]
	v_add_f64 v[76:77], v[7:8], v[9:10]
	v_add_f64 v[80:81], v[7:8], -v[9:10]
	v_mul_f64 v[9:10], v[3:4], -0.5
	v_fma_f64 v[7:8], v[35:36], s[8:9], v[15:16]
	v_add_f64 v[82:83], v[11:12], -v[5:6]
	v_fma_f64 v[5:6], v[33:34], s[12:13], v[13:14]
	v_fma_f64 v[9:10], v[1:2], s[8:9], v[9:10]
	v_mul_f64 v[1:2], v[1:2], -0.5
	v_add_f64 v[88:89], v[5:6], -v[9:10]
	v_fma_f64 v[1:2], v[3:4], s[12:13], v[1:2]
	v_add_f64 v[84:85], v[5:6], v[9:10]
	v_mul_u32_u24_e32 v9, 0x2aab, v137
	v_lshrrev_b32_e32 v41, 16, v9
	v_mul_lo_u16 v9, v41, 6
	v_sub_nc_u16 v42, v137, v9
	v_add_f64 v[86:87], v[7:8], v[1:2]
	v_add_f64 v[90:91], v[7:8], -v[1:2]
	v_mul_u32_u24_e32 v1, 6, v137
	v_mul_lo_u16 v9, v42, 48
	v_lshlrev_b32_e32 v230, 4, v1
	v_mul_lo_u16 v1, v59, 6
	ds_write_b128 v230, v[49:52]
	ds_write_b128 v230, v[76:79] offset:16
	ds_write_b128 v230, v[84:87] offset:32
	;; [unrolled: 1-line block ×4, first 2 shown]
	v_sub_nc_u16 v1, v0, v1
	v_and_b32_e32 v9, 0xffff, v9
	ds_write_b128 v230, v[88:91] offset:80
	s_waitcnt lgkmcnt(0)
	s_barrier
	v_and_b32_e32 v60, 0xff, v1
	buffer_gl0_inv
	v_add_co_u32 v9, s14, s10, v9
	v_add_co_ci_u32_e64 v10, null, s11, 0, s14
	v_mad_u64_u32 v[57:58], null, v60, 48, s[10:11]
	s_clause 0x1
	global_load_dwordx4 v[49:52], v[57:58], off
	global_load_dwordx4 v[53:56], v[57:58], off offset:16
	ds_read_b128 v[61:64], v218 offset:12288
	ds_read_b128 v[70:73], v218 offset:8192
	v_add_co_u32 v25, s14, s10, v25
	v_add_co_ci_u32_e64 v26, null, s11, 0, s14
	s_waitcnt vmcnt(1) lgkmcnt(1)
	v_mul_f64 v[1:2], v[63:64], v[51:52]
	v_mul_f64 v[3:4], v[61:62], v[51:52]
	v_fma_f64 v[1:2], v[61:62], v[49:50], -v[1:2]
	v_fma_f64 v[3:4], v[63:64], v[49:50], v[3:4]
	ds_read_b128 v[61:64], v218 offset:24576
	ds_read_b128 v[74:77], v218 offset:28672
	s_clause 0x1
	global_load_dwordx4 v[117:120], v[57:58], off offset:32
	global_load_dwordx4 v[109:112], v[9:10], off
	s_waitcnt vmcnt(2) lgkmcnt(1)
	v_mul_f64 v[5:6], v[63:64], v[55:56]
	v_mul_f64 v[7:8], v[61:62], v[55:56]
	v_fma_f64 v[5:6], v[61:62], v[53:54], -v[5:6]
	v_fma_f64 v[7:8], v[63:64], v[53:54], v[7:8]
	ds_read_b128 v[61:64], v218 offset:36864
	ds_read_b128 v[78:81], v218 offset:32768
	s_waitcnt vmcnt(1) lgkmcnt(1)
	v_mul_f64 v[11:12], v[63:64], v[119:120]
	v_mul_f64 v[13:14], v[61:62], v[119:120]
	v_fma_f64 v[11:12], v[61:62], v[117:118], -v[11:12]
	v_fma_f64 v[13:14], v[63:64], v[117:118], v[13:14]
	ds_read_b128 v[61:64], v218 offset:16384
	ds_read_b128 v[82:85], v218 offset:20480
	s_clause 0x1
	global_load_dwordx4 v[121:124], v[9:10], off offset:16
	global_load_dwordx4 v[113:116], v[9:10], off offset:32
	s_waitcnt vmcnt(2) lgkmcnt(1)
	v_mul_f64 v[15:16], v[63:64], v[111:112]
	v_mul_f64 v[17:18], v[61:62], v[111:112]
	v_add_f64 v[13:14], v[3:4], -v[13:14]
	v_add_f64 v[11:12], v[1:2], -v[11:12]
	v_fma_f64 v[15:16], v[61:62], v[109:110], -v[15:16]
	v_fma_f64 v[17:18], v[63:64], v[109:110], v[17:18]
	v_fma_f64 v[3:4], v[3:4], 2.0, -v[13:14]
	v_fma_f64 v[1:2], v[1:2], 2.0, -v[11:12]
	s_waitcnt vmcnt(1)
	v_mul_f64 v[9:10], v[76:77], v[123:124]
	v_mul_f64 v[19:20], v[74:75], v[123:124]
	v_fma_f64 v[9:10], v[74:75], v[121:122], -v[9:10]
	v_fma_f64 v[19:20], v[76:77], v[121:122], v[19:20]
	ds_read_b128 v[61:64], v218 offset:40960
	ds_read_b128 v[74:77], v218 offset:45056
	s_clause 0x2
	global_load_dwordx4 v[129:132], v[25:26], off
	global_load_dwordx4 v[125:128], v[25:26], off offset:16
	global_load_dwordx4 v[133:136], v[25:26], off offset:32
	s_waitcnt vmcnt(3) lgkmcnt(1)
	v_mul_f64 v[21:22], v[63:64], v[115:116]
	v_mul_f64 v[23:24], v[61:62], v[115:116]
	v_fma_f64 v[21:22], v[61:62], v[113:114], -v[21:22]
	v_fma_f64 v[23:24], v[63:64], v[113:114], v[23:24]
	s_waitcnt vmcnt(2)
	v_mul_f64 v[27:28], v[84:85], v[131:132]
	s_waitcnt vmcnt(1)
	v_mul_f64 v[31:32], v[80:81], v[127:128]
	s_waitcnt vmcnt(0) lgkmcnt(0)
	v_mul_f64 v[25:26], v[76:77], v[135:136]
	v_mul_f64 v[35:36], v[74:75], v[135:136]
	;; [unrolled: 1-line block ×4, first 2 shown]
	v_fma_f64 v[27:28], v[82:83], v[129:130], -v[27:28]
	v_fma_f64 v[31:32], v[78:79], v[125:126], -v[31:32]
	;; [unrolled: 1-line block ×3, first 2 shown]
	v_fma_f64 v[35:36], v[76:77], v[133:134], v[35:36]
	ds_read_b128 v[61:64], v218
	ds_read_b128 v[74:77], v218 offset:4096
	v_fma_f64 v[33:34], v[80:81], v[125:126], v[33:34]
	s_waitcnt lgkmcnt(0)
	s_barrier
	buffer_gl0_inv
	v_fma_f64 v[29:30], v[84:85], v[129:130], v[29:30]
	v_add_f64 v[5:6], v[61:62], -v[5:6]
	v_add_f64 v[7:8], v[63:64], -v[7:8]
	v_fma_f64 v[37:38], v[61:62], 2.0, -v[5:6]
	v_add_f64 v[61:62], v[5:6], -v[13:14]
	v_fma_f64 v[39:40], v[63:64], 2.0, -v[7:8]
	v_add_f64 v[63:64], v[7:8], v[11:12]
	v_add_f64 v[11:12], v[17:18], -v[23:24]
	v_add_f64 v[57:58], v[37:38], -v[1:2]
	v_fma_f64 v[78:79], v[5:6], 2.0, -v[61:62]
	v_mov_b32_e32 v5, 24
	v_add_f64 v[1:2], v[74:75], -v[9:10]
	v_add_f64 v[9:10], v[15:16], -v[21:22]
	v_fma_f64 v[80:81], v[7:8], 2.0, -v[63:64]
	v_mul_u32_u24_sdwa v5, v59, v5 dst_sel:DWORD dst_unused:UNUSED_PAD src0_sel:WORD_0 src1_sel:DWORD
	v_or_b32_e32 v5, v5, v60
	v_add_f64 v[59:60], v[39:40], -v[3:4]
	v_add_f64 v[3:4], v[76:77], -v[19:20]
	v_lshlrev_b32_e32 v234, 4, v5
	ds_write_b128 v234, v[61:64] offset:288
	ds_write_b128 v234, v[78:81] offset:96
	v_fma_f64 v[5:6], v[74:75], 2.0, -v[1:2]
	v_fma_f64 v[13:14], v[15:16], 2.0, -v[9:10]
	;; [unrolled: 1-line block ×6, first 2 shown]
	ds_write_b128 v234, v[57:60] offset:192
	ds_write_b128 v234, v[61:64]
	v_add_f64 v[57:58], v[5:6], -v[13:14]
	v_add_f64 v[59:60], v[7:8], -v[15:16]
	v_fma_f64 v[61:62], v[5:6], 2.0, -v[57:58]
	v_fma_f64 v[63:64], v[7:8], 2.0, -v[59:60]
	v_mul_lo_u16 v5, v41, 24
	v_or_b32_e32 v5, v5, v42
	v_lshlrev_b32_sdwa v233, v69, v5 dst_sel:DWORD dst_unused:UNUSED_PAD src0_sel:DWORD src1_sel:WORD_0
	ds_write_b128 v233, v[61:64]
	v_add_f64 v[61:62], v[1:2], -v[11:12]
	v_add_f64 v[63:64], v[3:4], v[9:10]
	v_add_f64 v[9:10], v[27:28], -v[25:26]
	v_add_f64 v[11:12], v[29:30], -v[35:36]
	v_mul_u32_u24_e32 v25, 0xaab, v67
	v_fma_f64 v[74:75], v[1:2], 2.0, -v[61:62]
	v_fma_f64 v[76:77], v[3:4], 2.0, -v[63:64]
	v_add_f64 v[1:2], v[70:71], -v[31:32]
	v_add_f64 v[3:4], v[72:73], -v[33:34]
	v_fma_f64 v[13:14], v[27:28], 2.0, -v[9:10]
	v_fma_f64 v[15:16], v[29:30], 2.0, -v[11:12]
	ds_write_b128 v233, v[74:77] offset:96
	ds_write_b128 v233, v[57:60] offset:192
	;; [unrolled: 1-line block ×3, first 2 shown]
	v_fma_f64 v[5:6], v[70:71], 2.0, -v[1:2]
	v_fma_f64 v[7:8], v[72:73], 2.0, -v[3:4]
	v_add_f64 v[57:58], v[5:6], -v[13:14]
	v_add_f64 v[59:60], v[7:8], -v[15:16]
	v_fma_f64 v[61:62], v[5:6], 2.0, -v[57:58]
	v_fma_f64 v[63:64], v[7:8], 2.0, -v[59:60]
	v_mul_lo_u16 v5, v43, 24
	v_lshrrev_b32_e32 v43, 16, v25
	v_or_b32_e32 v5, v5, v44
	v_mul_lo_u16 v25, v43, 24
	v_lshlrev_b32_sdwa v232, v69, v5 dst_sel:DWORD dst_unused:UNUSED_PAD src0_sel:DWORD src1_sel:WORD_0
	v_sub_nc_u16 v44, v67, v25
	v_mul_lo_u16 v25, v44, 48
	ds_write_b128 v232, v[61:64]
	v_add_f64 v[61:62], v[1:2], -v[11:12]
	v_add_f64 v[63:64], v[3:4], v[9:10]
	v_mul_u32_u24_e32 v9, 0xaab, v137
	v_and_b32_e32 v25, 0xffff, v25
	v_lshrrev_b32_e32 v41, 16, v9
	v_mul_lo_u16 v9, v41, 24
	v_sub_nc_u16 v42, v137, v9
	v_fma_f64 v[70:71], v[1:2], 2.0, -v[61:62]
	v_fma_f64 v[72:73], v[3:4], 2.0, -v[63:64]
	ds_write_b128 v232, v[70:73] offset:96
	ds_write_b128 v232, v[57:60] offset:192
	;; [unrolled: 1-line block ×3, first 2 shown]
	v_lshrrev_b16 v70, 12, v68
	s_waitcnt lgkmcnt(0)
	s_barrier
	buffer_gl0_inv
	v_mul_lo_u16 v9, v42, 48
	v_mul_lo_u16 v1, v70, 24
	v_lshrrev_b16 v68, 14, v68
	v_and_b32_e32 v9, 0xffff, v9
	v_sub_nc_u16 v1, v0, v1
	v_add_co_u32 v9, s14, s10, v9
	v_and_b32_e32 v71, 0xff, v1
	v_add_co_ci_u32_e64 v10, null, s11, 0, s14
	v_add_co_u32 v25, s14, s10, v25
	v_mad_u64_u32 v[65:66], null, v71, 48, s[10:11]
	s_clause 0x1
	global_load_dwordx4 v[57:60], v[65:66], off offset:288
	global_load_dwordx4 v[61:64], v[65:66], off offset:304
	ds_read_b128 v[72:75], v218 offset:12288
	ds_read_b128 v[76:79], v218 offset:8192
	v_add_co_ci_u32_e64 v26, null, s11, 0, s14
	s_waitcnt vmcnt(1) lgkmcnt(1)
	v_mul_f64 v[1:2], v[74:75], v[59:60]
	v_mul_f64 v[3:4], v[72:73], v[59:60]
	v_fma_f64 v[1:2], v[72:73], v[57:58], -v[1:2]
	v_fma_f64 v[3:4], v[74:75], v[57:58], v[3:4]
	ds_read_b128 v[72:75], v218 offset:24576
	ds_read_b128 v[80:83], v218 offset:28672
	s_clause 0x1
	global_load_dwordx4 v[161:164], v[65:66], off offset:320
	global_load_dwordx4 v[153:156], v[9:10], off offset:288
	s_waitcnt vmcnt(2) lgkmcnt(1)
	v_mul_f64 v[5:6], v[74:75], v[63:64]
	v_mul_f64 v[7:8], v[72:73], v[63:64]
	v_fma_f64 v[5:6], v[72:73], v[61:62], -v[5:6]
	v_fma_f64 v[7:8], v[74:75], v[61:62], v[7:8]
	ds_read_b128 v[72:75], v218 offset:36864
	ds_read_b128 v[84:87], v218 offset:32768
	s_waitcnt vmcnt(1) lgkmcnt(1)
	v_mul_f64 v[11:12], v[74:75], v[163:164]
	v_mul_f64 v[13:14], v[72:73], v[163:164]
	v_fma_f64 v[11:12], v[72:73], v[161:162], -v[11:12]
	v_fma_f64 v[13:14], v[74:75], v[161:162], v[13:14]
	ds_read_b128 v[72:75], v218 offset:16384
	ds_read_b128 v[88:91], v218 offset:20480
	s_clause 0x1
	global_load_dwordx4 v[165:168], v[9:10], off offset:304
	global_load_dwordx4 v[157:160], v[9:10], off offset:320
	s_waitcnt vmcnt(2) lgkmcnt(1)
	v_mul_f64 v[15:16], v[74:75], v[155:156]
	v_mul_f64 v[17:18], v[72:73], v[155:156]
	v_add_f64 v[13:14], v[3:4], -v[13:14]
	v_add_f64 v[11:12], v[1:2], -v[11:12]
	v_fma_f64 v[15:16], v[72:73], v[153:154], -v[15:16]
	v_fma_f64 v[17:18], v[74:75], v[153:154], v[17:18]
	v_fma_f64 v[3:4], v[3:4], 2.0, -v[13:14]
	v_fma_f64 v[1:2], v[1:2], 2.0, -v[11:12]
	s_waitcnt vmcnt(1)
	v_mul_f64 v[9:10], v[82:83], v[167:168]
	v_mul_f64 v[19:20], v[80:81], v[167:168]
	v_fma_f64 v[9:10], v[80:81], v[165:166], -v[9:10]
	v_fma_f64 v[19:20], v[82:83], v[165:166], v[19:20]
	ds_read_b128 v[72:75], v218 offset:40960
	ds_read_b128 v[80:83], v218 offset:45056
	s_clause 0x2
	global_load_dwordx4 v[173:176], v[25:26], off offset:288
	global_load_dwordx4 v[169:172], v[25:26], off offset:304
	;; [unrolled: 1-line block ×3, first 2 shown]
	s_waitcnt vmcnt(3) lgkmcnt(1)
	v_mul_f64 v[21:22], v[74:75], v[159:160]
	v_mul_f64 v[23:24], v[72:73], v[159:160]
	v_fma_f64 v[21:22], v[72:73], v[157:158], -v[21:22]
	v_fma_f64 v[23:24], v[74:75], v[157:158], v[23:24]
	s_waitcnt vmcnt(2)
	v_mul_f64 v[27:28], v[90:91], v[175:176]
	s_waitcnt vmcnt(1)
	v_mul_f64 v[31:32], v[86:87], v[171:172]
	s_waitcnt vmcnt(0) lgkmcnt(0)
	v_mul_f64 v[25:26], v[82:83], v[179:180]
	v_mul_f64 v[35:36], v[80:81], v[179:180]
	;; [unrolled: 1-line block ×4, first 2 shown]
	v_fma_f64 v[27:28], v[88:89], v[173:174], -v[27:28]
	v_fma_f64 v[31:32], v[84:85], v[169:170], -v[31:32]
	;; [unrolled: 1-line block ×3, first 2 shown]
	v_fma_f64 v[35:36], v[82:83], v[177:178], v[35:36]
	ds_read_b128 v[72:75], v218
	ds_read_b128 v[80:83], v218 offset:4096
	v_fma_f64 v[33:34], v[86:87], v[169:170], v[33:34]
	s_waitcnt lgkmcnt(0)
	s_barrier
	buffer_gl0_inv
	v_fma_f64 v[29:30], v[90:91], v[173:174], v[29:30]
	v_add_f64 v[5:6], v[72:73], -v[5:6]
	v_add_f64 v[7:8], v[74:75], -v[7:8]
	v_fma_f64 v[37:38], v[72:73], 2.0, -v[5:6]
	v_fma_f64 v[39:40], v[74:75], 2.0, -v[7:8]
	v_add_f64 v[72:73], v[5:6], -v[13:14]
	v_add_f64 v[74:75], v[7:8], v[11:12]
	v_add_f64 v[11:12], v[17:18], -v[23:24]
	v_fma_f64 v[84:85], v[5:6], 2.0, -v[72:73]
	v_fma_f64 v[86:87], v[7:8], 2.0, -v[74:75]
	v_mov_b32_e32 v5, 0x60
	v_mul_u32_u24_sdwa v5, v70, v5 dst_sel:DWORD dst_unused:UNUSED_PAD src0_sel:WORD_0 src1_sel:DWORD
	v_or_b32_e32 v5, v5, v71
	v_add_f64 v[70:71], v[37:38], -v[1:2]
	v_add_f64 v[1:2], v[80:81], -v[9:10]
	;; [unrolled: 1-line block ×3, first 2 shown]
	v_lshlrev_b32_e32 v238, 4, v5
	ds_write_b128 v238, v[72:75] offset:1152
	ds_write_b128 v238, v[84:87] offset:384
	v_add_f64 v[72:73], v[39:40], -v[3:4]
	v_add_f64 v[3:4], v[82:83], -v[19:20]
	v_fma_f64 v[84:85], v[37:38], 2.0, -v[70:71]
	v_fma_f64 v[5:6], v[80:81], 2.0, -v[1:2]
	;; [unrolled: 1-line block ×6, first 2 shown]
	ds_write_b128 v238, v[70:73] offset:768
	ds_write_b128 v238, v[84:87]
	v_add_f64 v[70:71], v[5:6], -v[13:14]
	v_add_f64 v[72:73], v[7:8], -v[15:16]
	v_fma_f64 v[80:81], v[5:6], 2.0, -v[70:71]
	v_fma_f64 v[82:83], v[7:8], 2.0, -v[72:73]
	v_mul_lo_u16 v5, 0x60, v41
	v_or_b32_e32 v5, v5, v42
	v_lshlrev_b32_sdwa v237, v69, v5 dst_sel:DWORD dst_unused:UNUSED_PAD src0_sel:DWORD src1_sel:WORD_0
	ds_write_b128 v237, v[80:83]
	v_add_f64 v[80:81], v[1:2], -v[11:12]
	v_add_f64 v[82:83], v[3:4], v[9:10]
	v_add_f64 v[9:10], v[27:28], -v[25:26]
	v_add_f64 v[11:12], v[29:30], -v[35:36]
	v_mul_u32_u24_e32 v25, 0x2ab, v67
	v_fma_f64 v[84:85], v[1:2], 2.0, -v[80:81]
	v_fma_f64 v[86:87], v[3:4], 2.0, -v[82:83]
	v_add_f64 v[1:2], v[76:77], -v[31:32]
	v_add_f64 v[3:4], v[78:79], -v[33:34]
	v_fma_f64 v[13:14], v[27:28], 2.0, -v[9:10]
	v_fma_f64 v[15:16], v[29:30], 2.0, -v[11:12]
	ds_write_b128 v237, v[84:87] offset:384
	ds_write_b128 v237, v[70:73] offset:768
	;; [unrolled: 1-line block ×3, first 2 shown]
	v_fma_f64 v[5:6], v[76:77], 2.0, -v[1:2]
	v_fma_f64 v[7:8], v[78:79], 2.0, -v[3:4]
	v_add_f64 v[70:71], v[5:6], -v[13:14]
	v_add_f64 v[72:73], v[7:8], -v[15:16]
	v_fma_f64 v[74:75], v[5:6], 2.0, -v[70:71]
	v_fma_f64 v[76:77], v[7:8], 2.0, -v[72:73]
	v_mul_lo_u16 v5, 0x60, v43
	v_lshrrev_b32_e32 v43, 16, v25
	v_or_b32_e32 v5, v5, v44
	v_mul_lo_u16 v25, 0x60, v43
	v_lshlrev_b32_sdwa v236, v69, v5 dst_sel:DWORD dst_unused:UNUSED_PAD src0_sel:DWORD src1_sel:WORD_0
	v_sub_nc_u16 v44, v67, v25
	v_mul_lo_u16 v25, v44, 48
	ds_write_b128 v236, v[74:77]
	v_add_f64 v[74:75], v[1:2], -v[11:12]
	v_add_f64 v[76:77], v[3:4], v[9:10]
	v_mul_u32_u24_e32 v9, 0x2ab, v137
	v_and_b32_e32 v25, 0xffff, v25
	v_lshrrev_b32_e32 v41, 16, v9
	v_mul_lo_u16 v9, 0x60, v41
	v_sub_nc_u16 v42, v137, v9
	v_fma_f64 v[78:79], v[1:2], 2.0, -v[74:75]
	v_fma_f64 v[80:81], v[3:4], 2.0, -v[76:77]
	v_mul_lo_u16 v1, 0x60, v68
	ds_write_b128 v236, v[78:81] offset:384
	ds_write_b128 v236, v[70:73] offset:768
	;; [unrolled: 1-line block ×3, first 2 shown]
	v_sub_nc_u16 v1, v0, v1
	s_waitcnt lgkmcnt(0)
	s_barrier
	buffer_gl0_inv
	v_mul_lo_u16 v9, v42, 48
	v_and_b32_e32 v70, 0xff, v1
	v_and_b32_e32 v9, 0xffff, v9
	v_mad_u64_u32 v[65:66], null, v70, 48, s[10:11]
	s_clause 0x1
	global_load_dwordx4 v[73:76], v[65:66], off offset:1440
	global_load_dwordx4 v[85:88], v[65:66], off offset:1456
	ds_read_b128 v[77:80], v218 offset:12288
	ds_read_b128 v[81:84], v218 offset:8192
	v_add_co_u32 v9, s14, s10, v9
	v_add_co_ci_u32_e64 v10, null, s11, 0, s14
	v_add_co_u32 v25, s14, s10, v25
	v_add_co_ci_u32_e64 v26, null, s11, 0, s14
	s_waitcnt vmcnt(1) lgkmcnt(1)
	v_mul_f64 v[1:2], v[79:80], v[75:76]
	v_mul_f64 v[3:4], v[77:78], v[75:76]
	v_fma_f64 v[1:2], v[77:78], v[73:74], -v[1:2]
	v_fma_f64 v[3:4], v[79:80], v[73:74], v[3:4]
	ds_read_b128 v[77:80], v218 offset:24576
	ds_read_b128 v[89:92], v218 offset:28672
	s_clause 0x1
	global_load_dwordx4 v[197:200], v[65:66], off offset:1472
	global_load_dwordx4 v[189:192], v[9:10], off offset:1440
	s_waitcnt vmcnt(2) lgkmcnt(1)
	v_mul_f64 v[5:6], v[79:80], v[87:88]
	v_mul_f64 v[7:8], v[77:78], v[87:88]
	v_fma_f64 v[5:6], v[77:78], v[85:86], -v[5:6]
	v_fma_f64 v[7:8], v[79:80], v[85:86], v[7:8]
	ds_read_b128 v[77:80], v218 offset:36864
	ds_read_b128 v[93:96], v218 offset:32768
	s_waitcnt vmcnt(1) lgkmcnt(1)
	v_mul_f64 v[11:12], v[79:80], v[199:200]
	v_mul_f64 v[13:14], v[77:78], v[199:200]
	v_fma_f64 v[11:12], v[77:78], v[197:198], -v[11:12]
	v_fma_f64 v[13:14], v[79:80], v[197:198], v[13:14]
	ds_read_b128 v[77:80], v218 offset:16384
	ds_read_b128 v[97:100], v218 offset:20480
	s_clause 0x1
	global_load_dwordx4 v[201:204], v[9:10], off offset:1456
	global_load_dwordx4 v[193:196], v[9:10], off offset:1472
	s_waitcnt vmcnt(2) lgkmcnt(1)
	v_mul_f64 v[15:16], v[79:80], v[191:192]
	v_mul_f64 v[17:18], v[77:78], v[191:192]
	v_add_f64 v[13:14], v[3:4], -v[13:14]
	v_add_f64 v[11:12], v[1:2], -v[11:12]
	v_fma_f64 v[15:16], v[77:78], v[189:190], -v[15:16]
	v_fma_f64 v[17:18], v[79:80], v[189:190], v[17:18]
	v_fma_f64 v[3:4], v[3:4], 2.0, -v[13:14]
	v_fma_f64 v[1:2], v[1:2], 2.0, -v[11:12]
	s_waitcnt vmcnt(1)
	v_mul_f64 v[9:10], v[91:92], v[203:204]
	v_mul_f64 v[19:20], v[89:90], v[203:204]
	v_fma_f64 v[9:10], v[89:90], v[201:202], -v[9:10]
	v_fma_f64 v[19:20], v[91:92], v[201:202], v[19:20]
	ds_read_b128 v[77:80], v218 offset:40960
	ds_read_b128 v[89:92], v218 offset:45056
	s_clause 0x2
	global_load_dwordx4 v[209:212], v[25:26], off offset:1440
	global_load_dwordx4 v[205:208], v[25:26], off offset:1456
	;; [unrolled: 1-line block ×3, first 2 shown]
	s_waitcnt vmcnt(3) lgkmcnt(1)
	v_mul_f64 v[21:22], v[79:80], v[195:196]
	v_mul_f64 v[23:24], v[77:78], v[195:196]
	v_fma_f64 v[21:22], v[77:78], v[193:194], -v[21:22]
	v_fma_f64 v[23:24], v[79:80], v[193:194], v[23:24]
	s_waitcnt vmcnt(2)
	v_mul_f64 v[27:28], v[99:100], v[211:212]
	s_waitcnt vmcnt(1)
	v_mul_f64 v[31:32], v[95:96], v[207:208]
	s_waitcnt vmcnt(0) lgkmcnt(0)
	v_mul_f64 v[25:26], v[91:92], v[215:216]
	v_mul_f64 v[35:36], v[89:90], v[215:216]
	;; [unrolled: 1-line block ×4, first 2 shown]
	v_fma_f64 v[27:28], v[97:98], v[209:210], -v[27:28]
	v_fma_f64 v[31:32], v[93:94], v[205:206], -v[31:32]
	;; [unrolled: 1-line block ×3, first 2 shown]
	v_fma_f64 v[35:36], v[91:92], v[213:214], v[35:36]
	ds_read_b128 v[77:80], v218
	ds_read_b128 v[89:92], v218 offset:4096
	v_fma_f64 v[33:34], v[95:96], v[205:206], v[33:34]
	s_waitcnt lgkmcnt(0)
	s_barrier
	buffer_gl0_inv
	v_fma_f64 v[29:30], v[99:100], v[209:210], v[29:30]
	v_add_f64 v[5:6], v[77:78], -v[5:6]
	v_add_f64 v[7:8], v[79:80], -v[7:8]
	v_fma_f64 v[37:38], v[77:78], 2.0, -v[5:6]
	v_add_f64 v[77:78], v[5:6], -v[13:14]
	v_fma_f64 v[39:40], v[79:80], 2.0, -v[7:8]
	v_add_f64 v[79:80], v[7:8], v[11:12]
	v_add_f64 v[11:12], v[17:18], -v[23:24]
	v_add_f64 v[65:66], v[37:38], -v[1:2]
	v_fma_f64 v[93:94], v[5:6], 2.0, -v[77:78]
	v_mov_b32_e32 v5, 0x180
	v_add_f64 v[1:2], v[89:90], -v[9:10]
	v_add_f64 v[9:10], v[15:16], -v[21:22]
	v_fma_f64 v[95:96], v[7:8], 2.0, -v[79:80]
	v_mul_u32_u24_sdwa v5, v68, v5 dst_sel:DWORD dst_unused:UNUSED_PAD src0_sel:WORD_0 src1_sel:DWORD
	v_add_f64 v[67:68], v[39:40], -v[3:4]
	v_add_f64 v[3:4], v[91:92], -v[19:20]
	v_or_b32_e32 v5, v5, v70
	v_lshlrev_b32_e32 v241, 4, v5
	ds_write_b128 v241, v[77:80] offset:4608
	ds_write_b128 v241, v[93:96] offset:1536
	v_fma_f64 v[5:6], v[89:90], 2.0, -v[1:2]
	v_fma_f64 v[13:14], v[15:16], 2.0, -v[9:10]
	;; [unrolled: 1-line block ×6, first 2 shown]
	ds_write_b128 v241, v[65:68] offset:3072
	ds_write_b128 v241, v[77:80]
	v_add_f64 v[65:66], v[5:6], -v[13:14]
	v_add_f64 v[67:68], v[7:8], -v[15:16]
	v_fma_f64 v[77:78], v[5:6], 2.0, -v[65:66]
	v_fma_f64 v[79:80], v[7:8], 2.0, -v[67:68]
	v_mul_lo_u16 v5, 0x180, v41
	v_or_b32_e32 v5, v5, v42
	v_lshlrev_b32_sdwa v240, v69, v5 dst_sel:DWORD dst_unused:UNUSED_PAD src0_sel:DWORD src1_sel:WORD_0
	ds_write_b128 v240, v[77:80]
	v_add_f64 v[77:78], v[1:2], -v[11:12]
	v_add_f64 v[79:80], v[3:4], v[9:10]
	v_add_f64 v[9:10], v[27:28], -v[25:26]
	v_add_f64 v[11:12], v[29:30], -v[35:36]
	v_fma_f64 v[89:90], v[1:2], 2.0, -v[77:78]
	v_add_f64 v[1:2], v[81:82], -v[31:32]
	v_fma_f64 v[91:92], v[3:4], 2.0, -v[79:80]
	;; [unrolled: 2-line block ×3, first 2 shown]
	v_fma_f64 v[15:16], v[29:30], 2.0, -v[11:12]
	ds_write_b128 v240, v[89:92] offset:1536
	ds_write_b128 v240, v[65:68] offset:3072
	;; [unrolled: 1-line block ×3, first 2 shown]
	v_fma_f64 v[5:6], v[81:82], 2.0, -v[1:2]
	v_fma_f64 v[7:8], v[83:84], 2.0, -v[3:4]
	v_add_f64 v[71:72], v[3:4], v[9:10]
	v_add_f64 v[65:66], v[5:6], -v[13:14]
	v_add_f64 v[67:68], v[7:8], -v[15:16]
	v_fma_f64 v[77:78], v[5:6], 2.0, -v[65:66]
	v_mul_lo_u16 v5, 0x180, v43
	v_fma_f64 v[79:80], v[7:8], 2.0, -v[67:68]
	v_or_b32_e32 v5, v5, v44
	v_mov_b32_e32 v44, v0
	v_lshlrev_b32_sdwa v239, v69, v5 dst_sel:DWORD dst_unused:UNUSED_PAD src0_sel:DWORD src1_sel:WORD_0
	v_add_f64 v[69:70], v[1:2], -v[11:12]
	ds_write_b128 v239, v[77:80]
	v_fma_f64 v[79:80], v[3:4], 2.0, -v[71:72]
	v_fma_f64 v[77:78], v[1:2], 2.0, -v[69:70]
	v_add_nc_u32_e32 v1, 0xffffff80, v0
	ds_write_b128 v239, v[77:80] offset:1536
	ds_write_b128 v239, v[65:68] offset:3072
	;; [unrolled: 1-line block ×3, first 2 shown]
	v_cndmask_b32_e32 v41, v1, v137, vcc_lo
	s_waitcnt lgkmcnt(0)
	s_barrier
	buffer_gl0_inv
	ds_read_b128 v[77:80], v218 offset:12288
	ds_read_b128 v[139:142], v218 offset:8192
	v_mul_i32_i24_e32 v1, 48, v41
	v_mul_hi_i32_i24_e32 v2, 48, v41
	v_add_co_u32 v17, vcc_lo, s10, v1
	v_add_co_ci_u32_e32 v18, vcc_lo, s11, v2, vcc_lo
	v_mad_u64_u32 v[1:2], null, v0, 48, s[10:11]
	v_add_co_u32 v3, vcc_lo, 0x1000, v1
	v_add_co_ci_u32_e32 v4, vcc_lo, 0, v2, vcc_lo
	v_add_co_u32 v5, vcc_lo, 0x17a0, v17
	v_add_co_ci_u32_e32 v6, vcc_lo, 0, v18, vcc_lo
	global_load_dwordx4 v[69:72], v[3:4], off offset:1952
	v_add_co_u32 v9, vcc_lo, 0x17a0, v1
	global_load_dwordx4 v[65:68], v[5:6], off offset:16
	v_add_co_ci_u32_e32 v10, vcc_lo, 0, v2, vcc_lo
	v_add_co_u32 v17, vcc_lo, 0x1000, v17
	v_add_co_ci_u32_e32 v18, vcc_lo, 0, v18, vcc_lo
	v_add_co_u32 v27, vcc_lo, 0x2800, v1
	;; [unrolled: 2-line block ×3, first 2 shown]
	v_add_co_ci_u32_e32 v2, vcc_lo, 0, v2, vcc_lo
	v_cmp_lt_u64_e32 vcc_lo, 0x17f, v[137:138]
	s_waitcnt vmcnt(1) lgkmcnt(1)
	v_mul_f64 v[3:4], v[79:80], v[71:72]
	v_mul_f64 v[7:8], v[77:78], v[71:72]
	v_fma_f64 v[3:4], v[77:78], v[69:70], -v[3:4]
	v_fma_f64 v[7:8], v[79:80], v[69:70], v[7:8]
	s_clause 0x1
	global_load_dwordx4 v[89:92], v[9:10], off offset:16
	global_load_dwordx4 v[77:80], v[9:10], off offset:32
	ds_read_b128 v[81:84], v218 offset:24576
	ds_read_b128 v[97:100], v218 offset:28672
	s_waitcnt vmcnt(2) lgkmcnt(0)
	v_mul_f64 v[19:20], v[99:100], v[67:68]
	v_mul_f64 v[21:22], v[97:98], v[67:68]
	v_fma_f64 v[19:20], v[97:98], v[65:66], -v[19:20]
	v_fma_f64 v[21:22], v[99:100], v[65:66], v[21:22]
	s_waitcnt vmcnt(1)
	v_mul_f64 v[9:10], v[83:84], v[91:92]
	v_mul_f64 v[11:12], v[81:82], v[91:92]
	v_fma_f64 v[9:10], v[81:82], v[89:90], -v[9:10]
	v_fma_f64 v[11:12], v[83:84], v[89:90], v[11:12]
	ds_read_b128 v[81:84], v218 offset:36864
	ds_read_b128 v[143:146], v218 offset:32768
	s_waitcnt vmcnt(0) lgkmcnt(1)
	v_mul_f64 v[13:14], v[83:84], v[79:80]
	v_mul_f64 v[15:16], v[81:82], v[79:80]
	v_fma_f64 v[13:14], v[81:82], v[77:78], -v[13:14]
	v_fma_f64 v[15:16], v[83:84], v[77:78], v[15:16]
	s_clause 0x1
	global_load_dwordx4 v[93:96], v[17:18], off offset:1952
	global_load_dwordx4 v[81:84], v[5:6], off offset:32
	ds_read_b128 v[101:104], v218 offset:16384
	ds_read_b128 v[105:108], v218 offset:20480
	;; [unrolled: 1-line block ×4, first 2 shown]
	v_add_f64 v[13:14], v[3:4], -v[13:14]
	v_add_f64 v[15:16], v[7:8], -v[15:16]
	v_fma_f64 v[3:4], v[3:4], 2.0, -v[13:14]
	v_fma_f64 v[7:8], v[7:8], 2.0, -v[15:16]
	s_waitcnt vmcnt(1) lgkmcnt(3)
	v_mul_f64 v[5:6], v[103:104], v[95:96]
	s_waitcnt vmcnt(0) lgkmcnt(1)
	v_mul_f64 v[23:24], v[99:100], v[83:84]
	v_mul_f64 v[25:26], v[97:98], v[83:84]
	;; [unrolled: 1-line block ×3, first 2 shown]
	v_fma_f64 v[5:6], v[101:102], v[93:94], -v[5:6]
	v_fma_f64 v[23:24], v[97:98], v[81:82], -v[23:24]
	v_fma_f64 v[25:26], v[99:100], v[81:82], v[25:26]
	global_load_dwordx4 v[97:100], v[27:28], off offset:1952
	v_fma_f64 v[17:18], v[103:104], v[93:94], v[17:18]
	s_waitcnt vmcnt(0)
	v_mul_f64 v[27:28], v[107:108], v[99:100]
	v_mul_f64 v[29:30], v[105:106], v[99:100]
	v_fma_f64 v[27:28], v[105:106], v[97:98], -v[27:28]
	v_fma_f64 v[29:30], v[107:108], v[97:98], v[29:30]
	s_clause 0x1
	global_load_dwordx4 v[105:108], v[1:2], off offset:16
	global_load_dwordx4 v[101:104], v[1:2], off offset:32
	s_waitcnt vmcnt(1)
	v_mul_f64 v[1:2], v[145:146], v[107:108]
	v_mul_f64 v[31:32], v[143:144], v[107:108]
	s_waitcnt vmcnt(0) lgkmcnt(0)
	v_mul_f64 v[33:34], v[149:150], v[103:104]
	v_mul_f64 v[35:36], v[147:148], v[103:104]
	v_fma_f64 v[1:2], v[143:144], v[105:106], -v[1:2]
	v_fma_f64 v[31:32], v[145:146], v[105:106], v[31:32]
	v_fma_f64 v[33:34], v[147:148], v[101:102], -v[33:34]
	v_fma_f64 v[35:36], v[149:150], v[101:102], v[35:36]
	ds_read_b128 v[143:146], v218
	ds_read_b128 v[147:150], v218 offset:4096
	s_waitcnt lgkmcnt(0)
	s_barrier
	buffer_gl0_inv
	v_add_f64 v[1:2], v[139:140], -v[1:2]
	v_add_f64 v[9:10], v[143:144], -v[9:10]
	;; [unrolled: 1-line block ×3, first 2 shown]
	v_fma_f64 v[37:38], v[143:144], 2.0, -v[9:10]
	v_fma_f64 v[39:40], v[145:146], 2.0, -v[11:12]
	v_add_f64 v[143:144], v[9:10], -v[15:16]
	v_add_f64 v[145:146], v[11:12], v[13:14]
	v_add_f64 v[13:14], v[5:6], -v[23:24]
	v_add_f64 v[15:16], v[17:18], -v[25:26]
	v_fma_f64 v[181:182], v[9:10], 2.0, -v[143:144]
	v_fma_f64 v[183:184], v[11:12], 2.0, -v[145:146]
	ds_write_b128 v218, v[143:146] offset:18432
	ds_write_b128 v218, v[181:184] offset:6144
	v_add_f64 v[143:144], v[37:38], -v[3:4]
	v_add_f64 v[145:146], v[39:40], -v[7:8]
	v_add_f64 v[3:4], v[147:148], -v[19:20]
	v_add_f64 v[7:8], v[149:150], -v[21:22]
	v_fma_f64 v[5:6], v[5:6], 2.0, -v[13:14]
	v_fma_f64 v[17:18], v[17:18], 2.0, -v[15:16]
	;; [unrolled: 1-line block ×6, first 2 shown]
	ds_write_b128 v218, v[143:146] offset:12288
	ds_write_b128 v218, v[181:184]
	v_add_f64 v[143:144], v[9:10], -v[5:6]
	v_add_f64 v[145:146], v[11:12], -v[17:18]
	v_cndmask_b32_e64 v5, 0, 0x600, vcc_lo
	v_or_b32_e32 v5, v5, v41
	v_lshlrev_b32_e32 v235, 4, v5
	v_fma_f64 v[5:6], v[139:140], 2.0, -v[1:2]
	v_fma_f64 v[147:148], v[9:10], 2.0, -v[143:144]
	;; [unrolled: 1-line block ×3, first 2 shown]
	v_add_f64 v[9:10], v[27:28], -v[33:34]
	v_add_f64 v[11:12], v[29:30], -v[35:36]
	ds_write_b128 v235, v[147:150]
	v_add_f64 v[147:148], v[3:4], -v[15:16]
	v_add_f64 v[149:150], v[7:8], v[13:14]
	v_fma_f64 v[13:14], v[27:28], 2.0, -v[9:10]
	v_fma_f64 v[15:16], v[29:30], 2.0, -v[11:12]
	;; [unrolled: 1-line block ×3, first 2 shown]
	v_add_f64 v[3:4], v[141:142], -v[31:32]
	v_fma_f64 v[183:184], v[7:8], 2.0, -v[149:150]
	v_add_f64 v[137:138], v[5:6], -v[13:14]
	ds_write_b128 v235, v[181:184] offset:6144
	ds_write_b128 v235, v[143:146] offset:12288
	;; [unrolled: 1-line block ×3, first 2 shown]
	v_fma_f64 v[7:8], v[141:142], 2.0, -v[3:4]
	v_fma_f64 v[141:142], v[5:6], 2.0, -v[137:138]
	v_add_co_u32 v13, s10, s10, v218
	v_add_co_ci_u32_e64 v21, null, s11, 0, s10
	v_add_f64 v[139:140], v[7:8], -v[15:16]
	v_fma_f64 v[143:144], v[7:8], 2.0, -v[139:140]
	ds_write_b128 v218, v[141:144] offset:26624
	v_add_f64 v[141:142], v[1:2], -v[11:12]
	v_add_f64 v[143:144], v[3:4], v[9:10]
	v_fma_f64 v[145:146], v[1:2], 2.0, -v[141:142]
	v_fma_f64 v[147:148], v[3:4], 2.0, -v[143:144]
	v_add_co_u32 v1, vcc_lo, 0x5800, v13
	v_add_co_ci_u32_e32 v2, vcc_lo, 0, v21, vcc_lo
	v_add_co_u32 v3, vcc_lo, 0x6800, v13
	v_add_co_ci_u32_e32 v4, vcc_lo, 0, v21, vcc_lo
	ds_write_b128 v218, v[145:148] offset:32768
	ds_write_b128 v218, v[137:140] offset:38912
	;; [unrolled: 1-line block ×3, first 2 shown]
	s_waitcnt lgkmcnt(0)
	s_barrier
	buffer_gl0_inv
	s_clause 0x1
	global_load_dwordx4 v[141:144], v[1:2], off offset:1952
	global_load_dwordx4 v[137:140], v[3:4], off offset:1952
	ds_read_b128 v[145:148], v218 offset:24576
	ds_read_b128 v[149:152], v218 offset:28672
	v_add_co_u32 v9, vcc_lo, 0x7800, v13
	v_add_co_ci_u32_e32 v10, vcc_lo, 0, v21, vcc_lo
	v_add_co_u32 v11, vcc_lo, 0x8800, v13
	v_add_co_ci_u32_e32 v12, vcc_lo, 0, v21, vcc_lo
	s_waitcnt vmcnt(1) lgkmcnt(1)
	v_mul_f64 v[1:2], v[147:148], v[143:144]
	v_mul_f64 v[3:4], v[145:146], v[143:144]
	s_waitcnt vmcnt(0) lgkmcnt(0)
	v_mul_f64 v[5:6], v[151:152], v[139:140]
	v_mul_f64 v[7:8], v[149:150], v[139:140]
	v_fma_f64 v[1:2], v[145:146], v[141:142], -v[1:2]
	v_fma_f64 v[3:4], v[147:148], v[141:142], v[3:4]
	v_fma_f64 v[5:6], v[149:150], v[137:138], -v[5:6]
	v_fma_f64 v[7:8], v[151:152], v[137:138], v[7:8]
	s_clause 0x1
	global_load_dwordx4 v[149:152], v[9:10], off offset:1952
	global_load_dwordx4 v[145:148], v[11:12], off offset:1952
	ds_read_b128 v[181:184], v218 offset:32768
	ds_read_b128 v[185:188], v218 offset:36864
	s_waitcnt vmcnt(1) lgkmcnt(1)
	v_mul_f64 v[11:12], v[181:182], v[151:152]
	v_mul_f64 v[9:10], v[183:184], v[151:152]
	v_fma_f64 v[14:15], v[183:184], v[149:150], v[11:12]
	s_waitcnt vmcnt(0) lgkmcnt(0)
	v_mul_f64 v[11:12], v[187:188], v[147:148]
	v_fma_f64 v[9:10], v[181:182], v[149:150], -v[9:10]
	v_fma_f64 v[16:17], v[185:186], v[145:146], -v[11:12]
	v_mul_f64 v[11:12], v[185:186], v[147:148]
	v_fma_f64 v[18:19], v[187:188], v[145:146], v[11:12]
	v_add_co_u32 v11, vcc_lo, 0x9800, v13
	v_add_co_ci_u32_e32 v12, vcc_lo, 0, v21, vcc_lo
	v_add_co_u32 v20, vcc_lo, 0xa800, v13
	v_add_co_ci_u32_e32 v21, vcc_lo, 0, v21, vcc_lo
	s_clause 0x1
	global_load_dwordx4 v[185:188], v[11:12], off offset:1952
	global_load_dwordx4 v[181:184], v[20:21], off offset:1952
	ds_read_b128 v[242:245], v218 offset:40960
	ds_read_b128 v[246:249], v218 offset:45056
	s_waitcnt vmcnt(1) lgkmcnt(1)
	v_mul_f64 v[11:12], v[244:245], v[187:188]
	v_fma_f64 v[20:21], v[242:243], v[185:186], -v[11:12]
	v_mul_f64 v[11:12], v[242:243], v[187:188]
	v_fma_f64 v[22:23], v[244:245], v[185:186], v[11:12]
	s_waitcnt vmcnt(0) lgkmcnt(0)
	v_mul_f64 v[11:12], v[248:249], v[183:184]
	v_fma_f64 v[32:33], v[246:247], v[181:182], -v[11:12]
	v_mul_f64 v[11:12], v[246:247], v[183:184]
	v_fma_f64 v[34:35], v[248:249], v[181:182], v[11:12]
	ds_read_b128 v[242:245], v218
	ds_read_b128 v[246:249], v218 offset:4096
	s_waitcnt lgkmcnt(1)
	v_add_f64 v[250:251], v[242:243], -v[1:2]
	v_add_f64 v[252:253], v[244:245], -v[3:4]
	s_waitcnt lgkmcnt(0)
	v_add_f64 v[219:220], v[246:247], -v[5:6]
	v_add_f64 v[221:222], v[248:249], -v[7:8]
	ds_read_b128 v[4:7], v218 offset:8192
	ds_read_b128 v[0:3], v218 offset:12288
	v_fma_f64 v[242:243], v[242:243], 2.0, -v[250:251]
	s_waitcnt lgkmcnt(1)
	v_add_f64 v[12:13], v[4:5], -v[9:10]
	v_add_f64 v[14:15], v[6:7], -v[14:15]
	s_waitcnt lgkmcnt(0)
	v_add_f64 v[16:17], v[0:1], -v[16:17]
	v_add_f64 v[18:19], v[2:3], -v[18:19]
	v_fma_f64 v[244:245], v[244:245], 2.0, -v[252:253]
	v_fma_f64 v[246:247], v[246:247], 2.0, -v[219:220]
	;; [unrolled: 1-line block ×7, first 2 shown]
	ds_read_b128 v[4:7], v218 offset:16384
	ds_read_b128 v[0:3], v218 offset:20480
	s_waitcnt lgkmcnt(1)
	v_add_f64 v[8:9], v[4:5], -v[20:21]
	v_add_f64 v[10:11], v[6:7], -v[22:23]
	v_fma_f64 v[20:21], v[4:5], 2.0, -v[8:9]
	v_fma_f64 v[22:23], v[6:7], 2.0, -v[10:11]
	s_waitcnt lgkmcnt(0)
	v_add_f64 v[4:5], v[0:1], -v[32:33]
	v_add_f64 v[6:7], v[2:3], -v[34:35]
	v_fma_f64 v[0:1], v[0:1], 2.0, -v[4:5]
	v_fma_f64 v[2:3], v[2:3], 2.0, -v[6:7]
	ds_write_b128 v218, v[250:253] offset:24576
	ds_write_b128 v218, v[219:222] offset:28672
	;; [unrolled: 1-line block ×6, first 2 shown]
	ds_write_b128 v218, v[242:245]
	ds_write_b128 v218, v[246:249] offset:4096
	ds_write_b128 v218, v[28:31] offset:8192
	;; [unrolled: 1-line block ×5, first 2 shown]
	s_waitcnt lgkmcnt(0)
	s_barrier
	buffer_gl0_inv
	s_clause 0x1
	global_load_dwordx4 v[0:3], v229, s[6:7]
	global_load_dwordx4 v[4:7], v218, s[6:7]
	ds_read_b128 v[8:11], v218
	ds_read_b128 v[12:15], v218 offset:4096
	s_waitcnt vmcnt(0) lgkmcnt(1)
	v_mul_f64 v[16:17], v[10:11], v[6:7]
	v_mul_f64 v[6:7], v[8:9], v[6:7]
	v_fma_f64 v[40:41], v[8:9], v[4:5], -v[16:17]
	ds_read_b128 v[16:19], v218 offset:8192
	ds_read_b128 v[20:23], v218 offset:12288
	v_fma_f64 v[42:43], v[10:11], v[4:5], v[6:7]
	s_waitcnt lgkmcnt(1)
	v_mul_f64 v[4:5], v[18:19], v[2:3]
	v_mul_f64 v[2:3], v[16:17], v[2:3]
	v_fma_f64 v[36:37], v[16:17], v[0:1], -v[4:5]
	v_fma_f64 v[38:39], v[18:19], v[0:1], v[2:3]
	v_or_b32_e32 v0, 0x4000, v218
	global_load_dwordx4 v[16:19], v0, s[6:7]
	v_or_b32_e32 v0, 0x6000, v218
	global_load_dwordx4 v[24:27], v0, s[6:7]
	ds_read_b128 v[28:31], v218 offset:16384
	ds_read_b128 v[219:222], v218 offset:20480
	s_waitcnt vmcnt(1) lgkmcnt(1)
	v_mul_f64 v[0:1], v[30:31], v[18:19]
	v_mul_f64 v[2:3], v[28:29], v[18:19]
	v_fma_f64 v[32:33], v[28:29], v[16:17], -v[0:1]
	v_fma_f64 v[34:35], v[30:31], v[16:17], v[2:3]
	ds_read_b128 v[16:19], v218 offset:24576
	ds_read_b128 v[242:245], v218 offset:28672
	s_waitcnt vmcnt(0) lgkmcnt(1)
	v_mul_f64 v[0:1], v[18:19], v[26:27]
	v_mul_f64 v[2:3], v[16:17], v[26:27]
	v_fma_f64 v[28:29], v[16:17], v[24:25], -v[0:1]
	v_or_b32_e32 v0, 0x8000, v218
	v_fma_f64 v[30:31], v[18:19], v[24:25], v[2:3]
	global_load_dwordx4 v[24:27], v0, s[6:7]
	v_or_b32_e32 v0, 0xa000, v218
	global_load_dwordx4 v[246:249], v0, s[6:7]
	ds_read_b128 v[250:253], v218 offset:32768
	ds_read_b128 v[8:11], v218 offset:36864
	s_waitcnt vmcnt(1) lgkmcnt(1)
	v_mul_f64 v[0:1], v[252:253], v[26:27]
	v_mul_f64 v[2:3], v[250:251], v[26:27]
	v_fma_f64 v[250:251], v[250:251], v[24:25], -v[0:1]
	v_fma_f64 v[252:253], v[252:253], v[24:25], v[2:3]
	ds_read_b128 v[24:27], v218 offset:40960
	ds_read_b128 v[4:7], v218 offset:45056
	s_waitcnt vmcnt(0) lgkmcnt(1)
	v_mul_f64 v[0:1], v[26:27], v[248:249]
	v_mul_f64 v[2:3], v[24:25], v[248:249]
	v_fma_f64 v[24:25], v[24:25], v[246:247], -v[0:1]
	buffer_load_dword v0, off, s[20:23], 0 offset:160 ; 4-byte Folded Reload
	v_fma_f64 v[26:27], v[26:27], v[246:247], v[2:3]
	s_waitcnt vmcnt(0)
	s_clause 0x1
	global_load_dwordx4 v[246:249], v0, s[6:7]
	global_load_dwordx4 v[0:3], v254, s[6:7]
	s_waitcnt vmcnt(1)
	v_mul_f64 v[16:17], v[14:15], v[248:249]
	v_mul_f64 v[18:19], v[12:13], v[248:249]
	v_fma_f64 v[12:13], v[12:13], v[246:247], -v[16:17]
	s_waitcnt vmcnt(0)
	v_mul_f64 v[16:17], v[22:23], v[2:3]
	v_mul_f64 v[2:3], v[20:21], v[2:3]
	v_fma_f64 v[14:15], v[14:15], v[246:247], v[18:19]
	v_fma_f64 v[20:21], v[20:21], v[0:1], -v[16:17]
	v_fma_f64 v[22:23], v[22:23], v[0:1], v[2:3]
	global_load_dwordx4 v[0:3], v255, s[6:7]
	v_or_b32_e32 v16, 0x7000, v218
	global_load_dwordx4 v[246:249], v16, s[6:7]
	s_waitcnt vmcnt(1)
	v_mul_f64 v[16:17], v[221:222], v[2:3]
	v_mul_f64 v[2:3], v[219:220], v[2:3]
	v_fma_f64 v[219:220], v[219:220], v[0:1], -v[16:17]
	v_fma_f64 v[221:222], v[221:222], v[0:1], v[2:3]
	s_waitcnt vmcnt(0)
	v_mul_f64 v[0:1], v[244:245], v[248:249]
	v_mul_f64 v[2:3], v[242:243], v[248:249]
	v_fma_f64 v[0:1], v[242:243], v[246:247], -v[0:1]
	v_fma_f64 v[2:3], v[244:245], v[246:247], v[2:3]
	s_clause 0x1
	global_load_dwordx4 v[242:245], v227, s[6:7]
	global_load_dwordx4 v[246:249], v228, s[6:7]
	s_waitcnt vmcnt(1)
	v_mul_f64 v[16:17], v[10:11], v[244:245]
	v_mul_f64 v[18:19], v[8:9], v[244:245]
	v_fma_f64 v[8:9], v[8:9], v[242:243], -v[16:17]
	v_fma_f64 v[10:11], v[10:11], v[242:243], v[18:19]
	s_waitcnt vmcnt(0) lgkmcnt(0)
	v_mul_f64 v[16:17], v[6:7], v[248:249]
	v_mul_f64 v[18:19], v[4:5], v[248:249]
	v_fma_f64 v[4:5], v[4:5], v[246:247], -v[16:17]
	v_fma_f64 v[6:7], v[6:7], v[246:247], v[18:19]
	ds_write_b128 v218, v[40:43]
	ds_write_b128 v218, v[36:39] offset:8192
	ds_write_b128 v218, v[32:35] offset:16384
	;; [unrolled: 1-line block ×11, first 2 shown]
	s_waitcnt lgkmcnt(0)
	s_barrier
	buffer_gl0_inv
	ds_read_b128 v[0:3], v218 offset:16384
	ds_read_b128 v[4:7], v218
	ds_read_b128 v[8:11], v218 offset:4096
	ds_read_b128 v[12:15], v218 offset:20480
	;; [unrolled: 1-line block ×4, first 2 shown]
	s_waitcnt lgkmcnt(4)
	v_add_f64 v[24:25], v[4:5], v[0:1]
	v_add_f64 v[26:27], v[6:7], v[2:3]
	s_waitcnt lgkmcnt(1)
	v_add_f64 v[40:41], v[0:1], v[16:17]
	v_add_f64 v[42:43], v[2:3], -v[18:19]
	v_add_f64 v[219:220], v[2:3], v[18:19]
	v_add_f64 v[221:222], v[0:1], -v[16:17]
	v_add_f64 v[227:228], v[24:25], v[16:17]
	v_add_f64 v[242:243], v[26:27], v[18:19]
	ds_read_b128 v[0:3], v218 offset:24576
	ds_read_b128 v[16:19], v218 offset:8192
	ds_read_b128 v[24:27], v218 offset:12288
	ds_read_b128 v[28:31], v218 offset:28672
	ds_read_b128 v[32:35], v218 offset:40960
	ds_read_b128 v[36:39], v218 offset:45056
	v_fma_f64 v[40:41], v[40:41], -0.5, v[4:5]
	v_fma_f64 v[219:220], v[219:220], -0.5, v[6:7]
	s_waitcnt lgkmcnt(0)
	s_barrier
	buffer_gl0_inv
	v_add_f64 v[244:245], v[16:17], v[0:1]
	v_add_f64 v[246:247], v[18:19], v[2:3]
	;; [unrolled: 1-line block ×4, first 2 shown]
	v_add_f64 v[254:255], v[0:1], -v[32:33]
	v_add_f64 v[252:253], v[2:3], -v[34:35]
	v_add_f64 v[32:33], v[244:245], v[32:33]
	v_add_f64 v[34:35], v[246:247], v[34:35]
	v_fma_f64 v[244:245], v[248:249], -0.5, v[18:19]
	v_fma_f64 v[246:247], v[250:251], -0.5, v[16:17]
	v_add_f64 v[0:1], v[227:228], v[32:33]
	v_add_f64 v[4:5], v[227:228], -v[32:33]
	v_fma_f64 v[16:17], v[254:255], s[8:9], v[244:245]
	v_fma_f64 v[32:33], v[252:253], s[12:13], v[246:247]
	v_add_f64 v[2:3], v[242:243], v[34:35]
	v_add_f64 v[6:7], v[242:243], -v[34:35]
	v_fma_f64 v[242:243], v[221:222], s[8:9], v[219:220]
	v_mul_f64 v[18:19], v[16:17], s[12:13]
	v_mul_f64 v[16:17], v[16:17], 0.5
	v_fma_f64 v[34:35], v[32:33], 0.5, v[18:19]
	v_fma_f64 v[227:228], v[32:33], s[8:9], v[16:17]
	v_fma_f64 v[32:33], v[42:43], s[12:13], v[40:41]
	;; [unrolled: 1-line block ×5, first 2 shown]
	v_add_f64 v[18:19], v[242:243], v[227:228]
	v_add_f64 v[16:17], v[32:33], v[34:35]
	v_add_f64 v[32:33], v[32:33], -v[34:35]
	v_add_f64 v[34:35], v[242:243], -v[227:228]
	v_fma_f64 v[227:228], v[254:255], s[12:13], v[244:245]
	v_mul_f64 v[221:222], v[227:228], s[12:13]
	v_mul_f64 v[227:228], v[227:228], -0.5
	v_fma_f64 v[242:243], v[219:220], -0.5, v[221:222]
	v_fma_f64 v[227:228], v[219:220], s[8:9], v[227:228]
	v_add_f64 v[219:220], v[40:41], v[242:243]
	v_add_f64 v[221:222], v[42:43], v[227:228]
	v_add_f64 v[242:243], v[40:41], -v[242:243]
	v_add_f64 v[244:245], v[42:43], -v[227:228]
	ds_write_b128 v231, v[0:3]
	ds_write_b128 v231, v[4:7] offset:48
	ds_write_b128 v231, v[16:19] offset:16
	;; [unrolled: 1-line block ×5, first 2 shown]
	v_add_f64 v[0:1], v[8:9], v[12:13]
	v_add_f64 v[2:3], v[10:11], v[14:15]
	;; [unrolled: 1-line block ×3, first 2 shown]
	v_add_f64 v[18:19], v[12:13], -v[20:21]
	v_add_f64 v[16:17], v[14:15], -v[22:23]
	v_add_f64 v[6:7], v[14:15], v[22:23]
	v_add_f64 v[12:13], v[0:1], v[20:21]
	;; [unrolled: 1-line block ×6, first 2 shown]
	v_add_f64 v[28:29], v[28:29], -v[36:37]
	v_add_f64 v[2:3], v[26:27], v[30:31]
	v_add_f64 v[30:31], v[30:31], -v[38:39]
	v_fma_f64 v[20:21], v[20:21], -0.5, v[26:27]
	v_add_f64 v[32:33], v[0:1], v[36:37]
	v_fma_f64 v[36:37], v[4:5], -0.5, v[8:9]
	v_fma_f64 v[22:23], v[22:23], -0.5, v[24:25]
	v_add_f64 v[34:35], v[2:3], v[38:39]
	v_fma_f64 v[38:39], v[6:7], -0.5, v[10:11]
	v_fma_f64 v[8:9], v[28:29], s[8:9], v[20:21]
	v_fma_f64 v[20:21], v[28:29], s[12:13], v[20:21]
	v_add_f64 v[0:1], v[12:13], v[32:33]
	v_add_f64 v[4:5], v[12:13], -v[32:33]
	v_fma_f64 v[12:13], v[30:31], s[12:13], v[22:23]
	v_add_f64 v[2:3], v[14:15], v[34:35]
	v_add_f64 v[6:7], v[14:15], -v[34:35]
	v_fma_f64 v[26:27], v[18:19], s[8:9], v[38:39]
	v_mul_f64 v[10:11], v[8:9], s[12:13]
	v_mul_f64 v[8:9], v[8:9], 0.5
	v_fma_f64 v[14:15], v[12:13], 0.5, v[10:11]
	v_fma_f64 v[24:25], v[12:13], s[8:9], v[8:9]
	v_fma_f64 v[12:13], v[16:17], s[12:13], v[36:37]
	v_add_f64 v[10:11], v[26:27], v[24:25]
	v_add_f64 v[8:9], v[12:13], v[14:15]
	v_add_f64 v[12:13], v[12:13], -v[14:15]
	v_add_f64 v[14:15], v[26:27], -v[24:25]
	v_fma_f64 v[24:25], v[16:17], s[8:9], v[36:37]
	v_fma_f64 v[26:27], v[18:19], s[12:13], v[38:39]
	v_fma_f64 v[16:17], v[30:31], s[8:9], v[22:23]
	v_mul_f64 v[18:19], v[20:21], s[12:13]
	v_mul_f64 v[20:21], v[20:21], -0.5
	v_fma_f64 v[22:23], v[16:17], -0.5, v[18:19]
	v_fma_f64 v[28:29], v[16:17], s[8:9], v[20:21]
	v_add_f64 v[16:17], v[24:25], v[22:23]
	v_add_f64 v[18:19], v[26:27], v[28:29]
	v_add_f64 v[20:21], v[24:25], -v[22:23]
	v_add_f64 v[22:23], v[26:27], -v[28:29]
	ds_write_b128 v230, v[0:3]
	ds_write_b128 v230, v[8:11] offset:16
	ds_write_b128 v230, v[16:19] offset:32
	;; [unrolled: 1-line block ×5, first 2 shown]
	s_waitcnt lgkmcnt(0)
	s_barrier
	buffer_gl0_inv
	ds_read_b128 v[0:3], v218 offset:12288
	ds_read_b128 v[4:7], v218 offset:8192
	s_waitcnt lgkmcnt(1)
	v_mul_f64 v[8:9], v[51:52], v[2:3]
	v_fma_f64 v[20:21], v[49:50], v[0:1], v[8:9]
	v_mul_f64 v[0:1], v[51:52], v[0:1]
	v_fma_f64 v[22:23], v[49:50], v[2:3], -v[0:1]
	ds_read_b128 v[0:3], v218 offset:24576
	ds_read_b128 v[8:11], v218 offset:28672
	s_waitcnt lgkmcnt(1)
	v_mul_f64 v[12:13], v[55:56], v[2:3]
	v_fma_f64 v[24:25], v[53:54], v[0:1], v[12:13]
	v_mul_f64 v[0:1], v[55:56], v[0:1]
	v_fma_f64 v[26:27], v[53:54], v[2:3], -v[0:1]
	ds_read_b128 v[0:3], v218 offset:36864
	ds_read_b128 v[12:15], v218 offset:32768
	s_waitcnt lgkmcnt(1)
	v_mul_f64 v[16:17], v[119:120], v[2:3]
	v_fma_f64 v[28:29], v[117:118], v[0:1], v[16:17]
	v_mul_f64 v[0:1], v[119:120], v[0:1]
	v_add_f64 v[28:29], v[20:21], -v[28:29]
	v_fma_f64 v[30:31], v[117:118], v[2:3], -v[0:1]
	ds_read_b128 v[0:3], v218 offset:16384
	ds_read_b128 v[16:19], v218 offset:20480
	s_waitcnt lgkmcnt(1)
	v_mul_f64 v[32:33], v[111:112], v[2:3]
	v_add_f64 v[30:31], v[22:23], -v[30:31]
	v_fma_f64 v[32:33], v[109:110], v[0:1], v[32:33]
	v_mul_f64 v[0:1], v[111:112], v[0:1]
	v_fma_f64 v[34:35], v[109:110], v[2:3], -v[0:1]
	v_mul_f64 v[0:1], v[123:124], v[10:11]
	v_fma_f64 v[36:37], v[121:122], v[8:9], v[0:1]
	v_mul_f64 v[0:1], v[123:124], v[8:9]
	v_fma_f64 v[38:39], v[121:122], v[10:11], -v[0:1]
	ds_read_b128 v[0:3], v218 offset:40960
	ds_read_b128 v[8:11], v218 offset:45056
	s_waitcnt lgkmcnt(1)
	v_mul_f64 v[40:41], v[115:116], v[2:3]
	v_fma_f64 v[40:41], v[113:114], v[0:1], v[40:41]
	v_mul_f64 v[0:1], v[115:116], v[0:1]
	v_fma_f64 v[42:43], v[113:114], v[2:3], -v[0:1]
	v_mul_f64 v[0:1], v[131:132], v[18:19]
	v_fma_f64 v[49:50], v[129:130], v[16:17], v[0:1]
	v_mul_f64 v[0:1], v[131:132], v[16:17]
	v_fma_f64 v[16:17], v[129:130], v[18:19], -v[0:1]
	;; [unrolled: 4-line block ×3, first 2 shown]
	s_waitcnt lgkmcnt(0)
	v_mul_f64 v[0:1], v[135:136], v[10:11]
	v_fma_f64 v[53:54], v[133:134], v[8:9], v[0:1]
	v_mul_f64 v[0:1], v[135:136], v[8:9]
	v_fma_f64 v[55:56], v[133:134], v[10:11], -v[0:1]
	ds_read_b128 v[0:3], v218
	ds_read_b128 v[8:11], v218 offset:4096
	s_waitcnt lgkmcnt(0)
	s_barrier
	buffer_gl0_inv
	v_add_f64 v[12:13], v[0:1], -v[24:25]
	v_add_f64 v[14:15], v[2:3], -v[26:27]
	v_fma_f64 v[24:25], v[0:1], 2.0, -v[12:13]
	v_fma_f64 v[26:27], v[2:3], 2.0, -v[14:15]
	v_add_f64 v[0:1], v[12:13], v[30:31]
	v_add_f64 v[2:3], v[14:15], -v[28:29]
	v_fma_f64 v[12:13], v[12:13], 2.0, -v[0:1]
	v_fma_f64 v[14:15], v[14:15], 2.0, -v[2:3]
	ds_write_b128 v234, v[0:3] offset:288
	ds_write_b128 v234, v[12:15] offset:96
	v_fma_f64 v[0:1], v[20:21], 2.0, -v[28:29]
	v_fma_f64 v[2:3], v[22:23], 2.0, -v[30:31]
	v_add_f64 v[20:21], v[32:33], -v[40:41]
	v_add_f64 v[22:23], v[34:35], -v[42:43]
	v_add_f64 v[0:1], v[24:25], -v[0:1]
	v_add_f64 v[2:3], v[26:27], -v[2:3]
	v_fma_f64 v[12:13], v[24:25], 2.0, -v[0:1]
	v_fma_f64 v[14:15], v[26:27], 2.0, -v[2:3]
	ds_write_b128 v234, v[0:3] offset:192
	ds_write_b128 v234, v[12:15]
	v_add_f64 v[12:13], v[8:9], -v[36:37]
	v_add_f64 v[14:15], v[10:11], -v[38:39]
	v_fma_f64 v[0:1], v[32:33], 2.0, -v[20:21]
	v_fma_f64 v[2:3], v[34:35], 2.0, -v[22:23]
	;; [unrolled: 1-line block ×4, first 2 shown]
	v_add_f64 v[0:1], v[8:9], -v[0:1]
	v_add_f64 v[2:3], v[10:11], -v[2:3]
	v_fma_f64 v[8:9], v[8:9], 2.0, -v[0:1]
	v_fma_f64 v[10:11], v[10:11], 2.0, -v[2:3]
	ds_write_b128 v233, v[8:11]
	v_add_f64 v[8:9], v[12:13], v[22:23]
	v_add_f64 v[10:11], v[14:15], -v[20:21]
	v_fma_f64 v[12:13], v[12:13], 2.0, -v[8:9]
	v_fma_f64 v[14:15], v[14:15], 2.0, -v[10:11]
	ds_write_b128 v233, v[12:15] offset:96
	ds_write_b128 v233, v[0:3] offset:192
	;; [unrolled: 1-line block ×3, first 2 shown]
	v_add_f64 v[8:9], v[4:5], -v[18:19]
	v_add_f64 v[10:11], v[6:7], -v[51:52]
	;; [unrolled: 1-line block ×4, first 2 shown]
	v_fma_f64 v[4:5], v[4:5], 2.0, -v[8:9]
	v_fma_f64 v[6:7], v[6:7], 2.0, -v[10:11]
	;; [unrolled: 1-line block ×4, first 2 shown]
	v_add_f64 v[0:1], v[4:5], -v[0:1]
	v_add_f64 v[2:3], v[6:7], -v[2:3]
	v_fma_f64 v[4:5], v[4:5], 2.0, -v[0:1]
	v_fma_f64 v[6:7], v[6:7], 2.0, -v[2:3]
	ds_write_b128 v232, v[4:7]
	v_add_f64 v[4:5], v[8:9], v[14:15]
	v_add_f64 v[6:7], v[10:11], -v[12:13]
	v_fma_f64 v[8:9], v[8:9], 2.0, -v[4:5]
	v_fma_f64 v[10:11], v[10:11], 2.0, -v[6:7]
	ds_write_b128 v232, v[8:11] offset:96
	ds_write_b128 v232, v[0:3] offset:192
	;; [unrolled: 1-line block ×3, first 2 shown]
	s_waitcnt lgkmcnt(0)
	s_barrier
	buffer_gl0_inv
	ds_read_b128 v[0:3], v218 offset:12288
	ds_read_b128 v[4:7], v218 offset:8192
	s_waitcnt lgkmcnt(1)
	v_mul_f64 v[8:9], v[59:60], v[2:3]
	v_fma_f64 v[20:21], v[57:58], v[0:1], v[8:9]
	v_mul_f64 v[0:1], v[59:60], v[0:1]
	v_fma_f64 v[22:23], v[57:58], v[2:3], -v[0:1]
	ds_read_b128 v[0:3], v218 offset:24576
	ds_read_b128 v[8:11], v218 offset:28672
	s_waitcnt lgkmcnt(1)
	v_mul_f64 v[12:13], v[63:64], v[2:3]
	v_fma_f64 v[24:25], v[61:62], v[0:1], v[12:13]
	v_mul_f64 v[0:1], v[63:64], v[0:1]
	v_fma_f64 v[26:27], v[61:62], v[2:3], -v[0:1]
	ds_read_b128 v[0:3], v218 offset:36864
	ds_read_b128 v[12:15], v218 offset:32768
	s_waitcnt lgkmcnt(1)
	v_mul_f64 v[16:17], v[163:164], v[2:3]
	v_fma_f64 v[28:29], v[161:162], v[0:1], v[16:17]
	v_mul_f64 v[0:1], v[163:164], v[0:1]
	v_add_f64 v[28:29], v[20:21], -v[28:29]
	v_fma_f64 v[30:31], v[161:162], v[2:3], -v[0:1]
	ds_read_b128 v[0:3], v218 offset:16384
	ds_read_b128 v[16:19], v218 offset:20480
	s_waitcnt lgkmcnt(1)
	v_mul_f64 v[32:33], v[155:156], v[2:3]
	v_add_f64 v[30:31], v[22:23], -v[30:31]
	v_fma_f64 v[32:33], v[153:154], v[0:1], v[32:33]
	v_mul_f64 v[0:1], v[155:156], v[0:1]
	v_fma_f64 v[34:35], v[153:154], v[2:3], -v[0:1]
	v_mul_f64 v[0:1], v[167:168], v[10:11]
	v_fma_f64 v[36:37], v[165:166], v[8:9], v[0:1]
	v_mul_f64 v[0:1], v[167:168], v[8:9]
	v_fma_f64 v[38:39], v[165:166], v[10:11], -v[0:1]
	ds_read_b128 v[0:3], v218 offset:40960
	ds_read_b128 v[8:11], v218 offset:45056
	s_waitcnt lgkmcnt(1)
	v_mul_f64 v[40:41], v[159:160], v[2:3]
	v_fma_f64 v[40:41], v[157:158], v[0:1], v[40:41]
	v_mul_f64 v[0:1], v[159:160], v[0:1]
	v_fma_f64 v[42:43], v[157:158], v[2:3], -v[0:1]
	v_mul_f64 v[0:1], v[175:176], v[18:19]
	v_fma_f64 v[49:50], v[173:174], v[16:17], v[0:1]
	v_mul_f64 v[0:1], v[175:176], v[16:17]
	v_fma_f64 v[16:17], v[173:174], v[18:19], -v[0:1]
	;; [unrolled: 4-line block ×3, first 2 shown]
	s_waitcnt lgkmcnt(0)
	v_mul_f64 v[0:1], v[179:180], v[10:11]
	v_fma_f64 v[53:54], v[177:178], v[8:9], v[0:1]
	v_mul_f64 v[0:1], v[179:180], v[8:9]
	v_fma_f64 v[55:56], v[177:178], v[10:11], -v[0:1]
	ds_read_b128 v[0:3], v218
	ds_read_b128 v[8:11], v218 offset:4096
	s_waitcnt lgkmcnt(0)
	s_barrier
	buffer_gl0_inv
	v_add_f64 v[12:13], v[0:1], -v[24:25]
	v_add_f64 v[14:15], v[2:3], -v[26:27]
	v_fma_f64 v[24:25], v[0:1], 2.0, -v[12:13]
	v_fma_f64 v[26:27], v[2:3], 2.0, -v[14:15]
	v_add_f64 v[0:1], v[12:13], v[30:31]
	v_add_f64 v[2:3], v[14:15], -v[28:29]
	v_fma_f64 v[12:13], v[12:13], 2.0, -v[0:1]
	v_fma_f64 v[14:15], v[14:15], 2.0, -v[2:3]
	ds_write_b128 v238, v[0:3] offset:1152
	ds_write_b128 v238, v[12:15] offset:384
	v_fma_f64 v[0:1], v[20:21], 2.0, -v[28:29]
	v_fma_f64 v[2:3], v[22:23], 2.0, -v[30:31]
	v_add_f64 v[20:21], v[32:33], -v[40:41]
	v_add_f64 v[22:23], v[34:35], -v[42:43]
	;; [unrolled: 1-line block ×4, first 2 shown]
	v_fma_f64 v[12:13], v[24:25], 2.0, -v[0:1]
	v_fma_f64 v[14:15], v[26:27], 2.0, -v[2:3]
	ds_write_b128 v238, v[0:3] offset:768
	ds_write_b128 v238, v[12:15]
	v_add_f64 v[12:13], v[8:9], -v[36:37]
	v_add_f64 v[14:15], v[10:11], -v[38:39]
	v_fma_f64 v[0:1], v[32:33], 2.0, -v[20:21]
	v_fma_f64 v[2:3], v[34:35], 2.0, -v[22:23]
	;; [unrolled: 1-line block ×4, first 2 shown]
	v_add_f64 v[0:1], v[8:9], -v[0:1]
	v_add_f64 v[2:3], v[10:11], -v[2:3]
	v_fma_f64 v[8:9], v[8:9], 2.0, -v[0:1]
	v_fma_f64 v[10:11], v[10:11], 2.0, -v[2:3]
	ds_write_b128 v237, v[8:11]
	v_add_f64 v[8:9], v[12:13], v[22:23]
	v_add_f64 v[10:11], v[14:15], -v[20:21]
	v_fma_f64 v[12:13], v[12:13], 2.0, -v[8:9]
	v_fma_f64 v[14:15], v[14:15], 2.0, -v[10:11]
	ds_write_b128 v237, v[12:15] offset:384
	ds_write_b128 v237, v[0:3] offset:768
	;; [unrolled: 1-line block ×3, first 2 shown]
	v_add_f64 v[8:9], v[4:5], -v[18:19]
	v_add_f64 v[10:11], v[6:7], -v[51:52]
	;; [unrolled: 1-line block ×4, first 2 shown]
	v_fma_f64 v[4:5], v[4:5], 2.0, -v[8:9]
	v_fma_f64 v[6:7], v[6:7], 2.0, -v[10:11]
	;; [unrolled: 1-line block ×4, first 2 shown]
	v_add_f64 v[0:1], v[4:5], -v[0:1]
	v_add_f64 v[2:3], v[6:7], -v[2:3]
	v_fma_f64 v[4:5], v[4:5], 2.0, -v[0:1]
	v_fma_f64 v[6:7], v[6:7], 2.0, -v[2:3]
	ds_write_b128 v236, v[4:7]
	v_add_f64 v[4:5], v[8:9], v[14:15]
	v_add_f64 v[6:7], v[10:11], -v[12:13]
	v_fma_f64 v[8:9], v[8:9], 2.0, -v[4:5]
	v_fma_f64 v[10:11], v[10:11], 2.0, -v[6:7]
	ds_write_b128 v236, v[8:11] offset:384
	ds_write_b128 v236, v[0:3] offset:768
	;; [unrolled: 1-line block ×3, first 2 shown]
	s_waitcnt lgkmcnt(0)
	s_barrier
	buffer_gl0_inv
	ds_read_b128 v[0:3], v218 offset:12288
	ds_read_b128 v[4:7], v218 offset:8192
	s_waitcnt lgkmcnt(1)
	v_mul_f64 v[8:9], v[75:76], v[2:3]
	v_fma_f64 v[20:21], v[73:74], v[0:1], v[8:9]
	v_mul_f64 v[0:1], v[75:76], v[0:1]
	v_fma_f64 v[22:23], v[73:74], v[2:3], -v[0:1]
	ds_read_b128 v[0:3], v218 offset:24576
	ds_read_b128 v[8:11], v218 offset:28672
	s_waitcnt lgkmcnt(1)
	v_mul_f64 v[12:13], v[87:88], v[2:3]
	v_fma_f64 v[24:25], v[85:86], v[0:1], v[12:13]
	v_mul_f64 v[0:1], v[87:88], v[0:1]
	v_fma_f64 v[26:27], v[85:86], v[2:3], -v[0:1]
	ds_read_b128 v[0:3], v218 offset:36864
	ds_read_b128 v[12:15], v218 offset:32768
	s_waitcnt lgkmcnt(1)
	v_mul_f64 v[16:17], v[199:200], v[2:3]
	v_fma_f64 v[28:29], v[197:198], v[0:1], v[16:17]
	v_mul_f64 v[0:1], v[199:200], v[0:1]
	v_add_f64 v[28:29], v[20:21], -v[28:29]
	v_fma_f64 v[30:31], v[197:198], v[2:3], -v[0:1]
	ds_read_b128 v[0:3], v218 offset:16384
	ds_read_b128 v[16:19], v218 offset:20480
	s_waitcnt lgkmcnt(1)
	v_mul_f64 v[32:33], v[191:192], v[2:3]
	v_add_f64 v[30:31], v[22:23], -v[30:31]
	v_fma_f64 v[32:33], v[189:190], v[0:1], v[32:33]
	v_mul_f64 v[0:1], v[191:192], v[0:1]
	v_fma_f64 v[34:35], v[189:190], v[2:3], -v[0:1]
	v_mul_f64 v[0:1], v[203:204], v[10:11]
	v_fma_f64 v[36:37], v[201:202], v[8:9], v[0:1]
	v_mul_f64 v[0:1], v[203:204], v[8:9]
	v_fma_f64 v[38:39], v[201:202], v[10:11], -v[0:1]
	ds_read_b128 v[0:3], v218 offset:40960
	ds_read_b128 v[8:11], v218 offset:45056
	s_waitcnt lgkmcnt(1)
	v_mul_f64 v[40:41], v[195:196], v[2:3]
	v_fma_f64 v[40:41], v[193:194], v[0:1], v[40:41]
	v_mul_f64 v[0:1], v[195:196], v[0:1]
	v_fma_f64 v[42:43], v[193:194], v[2:3], -v[0:1]
	v_mul_f64 v[0:1], v[211:212], v[18:19]
	v_fma_f64 v[49:50], v[209:210], v[16:17], v[0:1]
	v_mul_f64 v[0:1], v[211:212], v[16:17]
	v_fma_f64 v[16:17], v[209:210], v[18:19], -v[0:1]
	;; [unrolled: 4-line block ×3, first 2 shown]
	s_waitcnt lgkmcnt(0)
	v_mul_f64 v[0:1], v[215:216], v[10:11]
	v_fma_f64 v[53:54], v[213:214], v[8:9], v[0:1]
	v_mul_f64 v[0:1], v[215:216], v[8:9]
	v_fma_f64 v[55:56], v[213:214], v[10:11], -v[0:1]
	ds_read_b128 v[0:3], v218
	ds_read_b128 v[8:11], v218 offset:4096
	s_waitcnt lgkmcnt(0)
	s_barrier
	buffer_gl0_inv
	v_add_f64 v[12:13], v[0:1], -v[24:25]
	v_add_f64 v[14:15], v[2:3], -v[26:27]
	v_fma_f64 v[24:25], v[0:1], 2.0, -v[12:13]
	v_fma_f64 v[26:27], v[2:3], 2.0, -v[14:15]
	v_add_f64 v[0:1], v[12:13], v[30:31]
	v_add_f64 v[2:3], v[14:15], -v[28:29]
	v_fma_f64 v[12:13], v[12:13], 2.0, -v[0:1]
	v_fma_f64 v[14:15], v[14:15], 2.0, -v[2:3]
	ds_write_b128 v241, v[0:3] offset:4608
	ds_write_b128 v241, v[12:15] offset:1536
	v_fma_f64 v[0:1], v[20:21], 2.0, -v[28:29]
	v_fma_f64 v[2:3], v[22:23], 2.0, -v[30:31]
	v_add_f64 v[20:21], v[32:33], -v[40:41]
	v_add_f64 v[22:23], v[34:35], -v[42:43]
	;; [unrolled: 1-line block ×4, first 2 shown]
	v_fma_f64 v[12:13], v[24:25], 2.0, -v[0:1]
	v_fma_f64 v[14:15], v[26:27], 2.0, -v[2:3]
	ds_write_b128 v241, v[0:3] offset:3072
	ds_write_b128 v241, v[12:15]
	v_add_f64 v[12:13], v[8:9], -v[36:37]
	v_add_f64 v[14:15], v[10:11], -v[38:39]
	v_fma_f64 v[0:1], v[32:33], 2.0, -v[20:21]
	v_fma_f64 v[2:3], v[34:35], 2.0, -v[22:23]
	;; [unrolled: 1-line block ×4, first 2 shown]
	v_add_f64 v[0:1], v[8:9], -v[0:1]
	v_add_f64 v[2:3], v[10:11], -v[2:3]
	v_fma_f64 v[8:9], v[8:9], 2.0, -v[0:1]
	v_fma_f64 v[10:11], v[10:11], 2.0, -v[2:3]
	ds_write_b128 v240, v[8:11]
	v_add_f64 v[8:9], v[12:13], v[22:23]
	v_add_f64 v[10:11], v[14:15], -v[20:21]
	v_fma_f64 v[12:13], v[12:13], 2.0, -v[8:9]
	v_fma_f64 v[14:15], v[14:15], 2.0, -v[10:11]
	ds_write_b128 v240, v[12:15] offset:1536
	ds_write_b128 v240, v[0:3] offset:3072
	;; [unrolled: 1-line block ×3, first 2 shown]
	v_add_f64 v[8:9], v[4:5], -v[18:19]
	v_add_f64 v[10:11], v[6:7], -v[51:52]
	;; [unrolled: 1-line block ×4, first 2 shown]
	v_fma_f64 v[4:5], v[4:5], 2.0, -v[8:9]
	v_fma_f64 v[6:7], v[6:7], 2.0, -v[10:11]
	;; [unrolled: 1-line block ×4, first 2 shown]
	v_add_f64 v[0:1], v[4:5], -v[0:1]
	v_add_f64 v[2:3], v[6:7], -v[2:3]
	v_fma_f64 v[4:5], v[4:5], 2.0, -v[0:1]
	v_fma_f64 v[6:7], v[6:7], 2.0, -v[2:3]
	ds_write_b128 v239, v[4:7]
	v_add_f64 v[4:5], v[8:9], v[14:15]
	v_add_f64 v[6:7], v[10:11], -v[12:13]
	v_fma_f64 v[8:9], v[8:9], 2.0, -v[4:5]
	v_fma_f64 v[10:11], v[10:11], 2.0, -v[6:7]
	ds_write_b128 v239, v[8:11] offset:1536
	ds_write_b128 v239, v[0:3] offset:3072
	;; [unrolled: 1-line block ×3, first 2 shown]
	s_waitcnt lgkmcnt(0)
	s_barrier
	buffer_gl0_inv
	ds_read_b128 v[49:52], v218 offset:12288
	ds_read_b128 v[0:3], v218 offset:8192
	s_waitcnt lgkmcnt(1)
	v_mul_f64 v[4:5], v[71:72], v[51:52]
	v_fma_f64 v[20:21], v[69:70], v[49:50], v[4:5]
	v_mul_f64 v[4:5], v[71:72], v[49:50]
	v_fma_f64 v[22:23], v[69:70], v[51:52], -v[4:5]
	ds_read_b128 v[4:7], v218 offset:24576
	ds_read_b128 v[8:11], v218 offset:28672
	s_waitcnt lgkmcnt(1)
	v_mul_f64 v[12:13], v[91:92], v[6:7]
	v_fma_f64 v[24:25], v[89:90], v[4:5], v[12:13]
	v_mul_f64 v[4:5], v[91:92], v[4:5]
	v_fma_f64 v[26:27], v[89:90], v[6:7], -v[4:5]
	ds_read_b128 v[4:7], v218 offset:36864
	ds_read_b128 v[12:15], v218 offset:32768
	s_waitcnt lgkmcnt(1)
	v_mul_f64 v[16:17], v[79:80], v[6:7]
	v_fma_f64 v[28:29], v[77:78], v[4:5], v[16:17]
	v_mul_f64 v[4:5], v[79:80], v[4:5]
	v_add_f64 v[28:29], v[20:21], -v[28:29]
	v_fma_f64 v[30:31], v[77:78], v[6:7], -v[4:5]
	ds_read_b128 v[4:7], v218 offset:16384
	ds_read_b128 v[16:19], v218 offset:20480
	s_waitcnt lgkmcnt(1)
	v_mul_f64 v[32:33], v[95:96], v[6:7]
	v_add_f64 v[30:31], v[22:23], -v[30:31]
	v_fma_f64 v[32:33], v[93:94], v[4:5], v[32:33]
	v_mul_f64 v[4:5], v[95:96], v[4:5]
	v_fma_f64 v[34:35], v[93:94], v[6:7], -v[4:5]
	v_mul_f64 v[4:5], v[67:68], v[10:11]
	v_fma_f64 v[36:37], v[65:66], v[8:9], v[4:5]
	v_mul_f64 v[4:5], v[67:68], v[8:9]
	v_fma_f64 v[38:39], v[65:66], v[10:11], -v[4:5]
	ds_read_b128 v[4:7], v218 offset:40960
	ds_read_b128 v[8:11], v218 offset:45056
	s_waitcnt lgkmcnt(1)
	v_mul_f64 v[40:41], v[83:84], v[6:7]
	v_fma_f64 v[40:41], v[81:82], v[4:5], v[40:41]
	v_mul_f64 v[4:5], v[83:84], v[4:5]
	v_fma_f64 v[42:43], v[81:82], v[6:7], -v[4:5]
	v_mul_f64 v[4:5], v[99:100], v[18:19]
	v_fma_f64 v[49:50], v[97:98], v[16:17], v[4:5]
	v_mul_f64 v[4:5], v[99:100], v[16:17]
	v_fma_f64 v[16:17], v[97:98], v[18:19], -v[4:5]
	;; [unrolled: 4-line block ×3, first 2 shown]
	s_waitcnt lgkmcnt(0)
	v_mul_f64 v[4:5], v[103:104], v[10:11]
	v_fma_f64 v[53:54], v[101:102], v[8:9], v[4:5]
	v_mul_f64 v[4:5], v[103:104], v[8:9]
	v_fma_f64 v[55:56], v[101:102], v[10:11], -v[4:5]
	ds_read_b128 v[4:7], v218
	ds_read_b128 v[8:11], v218 offset:4096
	s_waitcnt lgkmcnt(0)
	s_barrier
	buffer_gl0_inv
	v_add_f64 v[12:13], v[4:5], -v[24:25]
	v_add_f64 v[14:15], v[6:7], -v[26:27]
	v_fma_f64 v[24:25], v[4:5], 2.0, -v[12:13]
	v_fma_f64 v[26:27], v[6:7], 2.0, -v[14:15]
	v_add_f64 v[4:5], v[12:13], v[30:31]
	v_add_f64 v[6:7], v[14:15], -v[28:29]
	v_fma_f64 v[12:13], v[12:13], 2.0, -v[4:5]
	v_fma_f64 v[14:15], v[14:15], 2.0, -v[6:7]
	ds_write_b128 v218, v[4:7] offset:18432
	ds_write_b128 v218, v[12:15] offset:6144
	v_fma_f64 v[4:5], v[20:21], 2.0, -v[28:29]
	v_fma_f64 v[6:7], v[22:23], 2.0, -v[30:31]
	v_add_f64 v[20:21], v[32:33], -v[40:41]
	v_add_f64 v[22:23], v[34:35], -v[42:43]
	;; [unrolled: 1-line block ×4, first 2 shown]
	v_fma_f64 v[12:13], v[24:25], 2.0, -v[4:5]
	v_fma_f64 v[14:15], v[26:27], 2.0, -v[6:7]
	ds_write_b128 v218, v[4:7] offset:12288
	ds_write_b128 v218, v[12:15]
	v_add_f64 v[12:13], v[8:9], -v[36:37]
	v_add_f64 v[14:15], v[10:11], -v[38:39]
	v_fma_f64 v[4:5], v[32:33], 2.0, -v[20:21]
	v_fma_f64 v[6:7], v[34:35], 2.0, -v[22:23]
	;; [unrolled: 1-line block ×4, first 2 shown]
	v_add_f64 v[4:5], v[8:9], -v[4:5]
	v_add_f64 v[6:7], v[10:11], -v[6:7]
	v_fma_f64 v[8:9], v[8:9], 2.0, -v[4:5]
	v_fma_f64 v[10:11], v[10:11], 2.0, -v[6:7]
	ds_write_b128 v235, v[8:11]
	v_add_f64 v[8:9], v[12:13], v[22:23]
	v_add_f64 v[10:11], v[14:15], -v[20:21]
	v_fma_f64 v[12:13], v[12:13], 2.0, -v[8:9]
	v_fma_f64 v[14:15], v[14:15], 2.0, -v[10:11]
	ds_write_b128 v235, v[12:15] offset:6144
	ds_write_b128 v235, v[4:7] offset:12288
	;; [unrolled: 1-line block ×3, first 2 shown]
	v_add_f64 v[8:9], v[0:1], -v[18:19]
	v_add_f64 v[10:11], v[2:3], -v[51:52]
	;; [unrolled: 1-line block ×4, first 2 shown]
	v_fma_f64 v[4:5], v[0:1], 2.0, -v[8:9]
	v_fma_f64 v[6:7], v[2:3], 2.0, -v[10:11]
	;; [unrolled: 1-line block ×4, first 2 shown]
	v_add_f64 v[0:1], v[4:5], -v[0:1]
	v_add_f64 v[2:3], v[6:7], -v[2:3]
	v_fma_f64 v[4:5], v[4:5], 2.0, -v[0:1]
	v_fma_f64 v[6:7], v[6:7], 2.0, -v[2:3]
	ds_write_b128 v218, v[4:7] offset:26624
	v_add_f64 v[4:5], v[8:9], v[14:15]
	v_add_f64 v[6:7], v[10:11], -v[12:13]
	v_fma_f64 v[8:9], v[8:9], 2.0, -v[4:5]
	v_fma_f64 v[10:11], v[10:11], 2.0, -v[6:7]
	ds_write_b128 v218, v[8:11] offset:32768
	ds_write_b128 v218, v[0:3] offset:38912
	;; [unrolled: 1-line block ×3, first 2 shown]
	s_waitcnt lgkmcnt(0)
	s_barrier
	buffer_gl0_inv
	ds_read_b128 v[0:3], v218 offset:24576
	ds_read_b128 v[4:7], v218 offset:28672
	s_waitcnt lgkmcnt(1)
	v_mul_f64 v[8:9], v[143:144], v[2:3]
	v_fma_f64 v[8:9], v[141:142], v[0:1], v[8:9]
	v_mul_f64 v[0:1], v[143:144], v[0:1]
	v_fma_f64 v[10:11], v[141:142], v[2:3], -v[0:1]
	s_waitcnt lgkmcnt(0)
	v_mul_f64 v[0:1], v[139:140], v[6:7]
	v_fma_f64 v[12:13], v[137:138], v[4:5], v[0:1]
	v_mul_f64 v[0:1], v[139:140], v[4:5]
	v_fma_f64 v[14:15], v[137:138], v[6:7], -v[0:1]
	ds_read_b128 v[0:3], v218 offset:32768
	ds_read_b128 v[4:7], v218 offset:36864
	s_waitcnt lgkmcnt(1)
	v_mul_f64 v[16:17], v[151:152], v[2:3]
	v_fma_f64 v[24:25], v[149:150], v[0:1], v[16:17]
	v_mul_f64 v[0:1], v[151:152], v[0:1]
	v_fma_f64 v[26:27], v[149:150], v[2:3], -v[0:1]
	s_waitcnt lgkmcnt(0)
	v_mul_f64 v[0:1], v[147:148], v[6:7]
	v_fma_f64 v[28:29], v[145:146], v[4:5], v[0:1]
	v_mul_f64 v[0:1], v[147:148], v[4:5]
	v_fma_f64 v[30:31], v[145:146], v[6:7], -v[0:1]
	;; [unrolled: 12-line block ×3, first 2 shown]
	ds_read_b128 v[0:3], v218
	ds_read_b128 v[4:7], v218 offset:4096
	ds_read_b128 v[16:19], v218 offset:8192
	;; [unrolled: 1-line block ×5, first 2 shown]
	s_waitcnt lgkmcnt(5)
	v_add_f64 v[8:9], v[0:1], -v[8:9]
	v_add_f64 v[10:11], v[2:3], -v[10:11]
	s_waitcnt lgkmcnt(4)
	v_add_f64 v[12:13], v[4:5], -v[12:13]
	v_add_f64 v[14:15], v[6:7], -v[14:15]
	;; [unrolled: 3-line block ×6, first 2 shown]
	v_fma_f64 v[0:1], v[0:1], 2.0, -v[8:9]
	v_fma_f64 v[2:3], v[2:3], 2.0, -v[10:11]
	;; [unrolled: 1-line block ×12, first 2 shown]
	ds_write_b128 v218, v[8:11] offset:24576
	ds_write_b128 v218, v[12:15] offset:28672
	;; [unrolled: 1-line block ×6, first 2 shown]
	ds_write_b128 v218, v[0:3]
	ds_write_b128 v218, v[4:7] offset:4096
	ds_write_b128 v218, v[16:19] offset:8192
	;; [unrolled: 1-line block ×5, first 2 shown]
	s_waitcnt lgkmcnt(0)
	s_barrier
	buffer_gl0_inv
	ds_read_b128 v[0:3], v218
	ds_read_b128 v[4:7], v218 offset:4096
	s_clause 0x3
	buffer_load_dword v12, off, s[20:23], 0 offset:144
	buffer_load_dword v13, off, s[20:23], 0 offset:148
	;; [unrolled: 1-line block ×4, first 2 shown]
	ds_read_b128 v[8:11], v218 offset:8192
	s_waitcnt vmcnt(2)
	v_mov_b32_e32 v31, v13
	s_waitcnt vmcnt(0) lgkmcnt(2)
	v_mul_f64 v[16:17], v[14:15], v[2:3]
	v_mul_f64 v[18:19], v[14:15], v[0:1]
	v_mov_b32_e32 v30, v12
	ds_read_b128 v[12:15], v218 offset:12288
	s_clause 0x3
	buffer_load_dword v24, off, s[20:23], 0 offset:112
	buffer_load_dword v25, off, s[20:23], 0 offset:116
	;; [unrolled: 1-line block ×4, first 2 shown]
	v_fma_f64 v[28:29], v[30:31], v[0:1], v[16:17]
	v_fma_f64 v[30:31], v[30:31], v[2:3], -v[18:19]
	ds_read_b128 v[0:3], v218 offset:16384
	ds_read_b128 v[16:19], v218 offset:20480
	s_waitcnt vmcnt(0) lgkmcnt(3)
	v_mul_f64 v[20:21], v[26:27], v[10:11]
	v_mul_f64 v[22:23], v[26:27], v[8:9]
	v_fma_f64 v[32:33], v[24:25], v[8:9], v[20:21]
	v_fma_f64 v[34:35], v[24:25], v[10:11], -v[22:23]
	s_clause 0x3
	buffer_load_dword v24, off, s[20:23], 0 offset:128
	buffer_load_dword v25, off, s[20:23], 0 offset:132
	;; [unrolled: 1-line block ×4, first 2 shown]
	ds_read_b128 v[8:11], v218 offset:24576
	s_waitcnt vmcnt(0) lgkmcnt(2)
	v_mul_f64 v[20:21], v[26:27], v[2:3]
	v_mul_f64 v[22:23], v[26:27], v[0:1]
	v_fma_f64 v[36:37], v[24:25], v[0:1], v[20:21]
	v_fma_f64 v[38:39], v[24:25], v[2:3], -v[22:23]
	ds_read_b128 v[0:3], v218 offset:28672
	s_clause 0x3
	buffer_load_dword v24, off, s[20:23], 0 offset:96
	buffer_load_dword v25, off, s[20:23], 0 offset:100
	;; [unrolled: 1-line block ×4, first 2 shown]
	s_waitcnt vmcnt(0) lgkmcnt(1)
	v_mul_f64 v[20:21], v[26:27], v[10:11]
	v_mul_f64 v[22:23], v[26:27], v[8:9]
	v_fma_f64 v[40:41], v[24:25], v[8:9], v[20:21]
	v_fma_f64 v[42:43], v[24:25], v[10:11], -v[22:23]
	ds_read_b128 v[8:11], v218 offset:32768
	ds_read_b128 v[20:23], v218 offset:36864
	s_clause 0x3
	buffer_load_dword v51, off, s[20:23], 0 offset:80
	buffer_load_dword v52, off, s[20:23], 0 offset:84
	;; [unrolled: 1-line block ×4, first 2 shown]
	s_waitcnt vmcnt(0) lgkmcnt(1)
	v_mul_f64 v[24:25], v[53:54], v[10:11]
	v_fma_f64 v[49:50], v[51:52], v[8:9], v[24:25]
	v_mul_f64 v[8:9], v[53:54], v[8:9]
	v_fma_f64 v[51:52], v[51:52], v[10:11], -v[8:9]
	ds_read_b128 v[8:11], v218 offset:40960
	ds_read_b128 v[24:27], v218 offset:45056
	s_clause 0x3
	buffer_load_dword v55, off, s[20:23], 0 offset:64
	buffer_load_dword v56, off, s[20:23], 0 offset:68
	;; [unrolled: 1-line block ×4, first 2 shown]
	s_waitcnt vmcnt(0) lgkmcnt(1)
	v_mul_f64 v[53:54], v[57:58], v[10:11]
	v_fma_f64 v[53:54], v[55:56], v[8:9], v[53:54]
	v_mul_f64 v[8:9], v[57:58], v[8:9]
	v_fma_f64 v[55:56], v[55:56], v[10:11], -v[8:9]
	v_mul_f64 v[8:9], v[47:48], v[6:7]
	v_mul_f64 v[10:11], v[225:226], v[12:13]
	v_fma_f64 v[57:58], v[45:46], v[4:5], v[8:9]
	v_mul_f64 v[4:5], v[47:48], v[4:5]
	v_fma_f64 v[59:60], v[223:224], v[14:15], -v[10:11]
	v_fma_f64 v[45:46], v[45:46], v[6:7], -v[4:5]
	v_mad_u64_u32 v[4:5], null, s2, v217, 0
	v_mad_u64_u32 v[5:6], null, s3, v217, v[5:6]
	;; [unrolled: 1-line block ×3, first 2 shown]
	s_load_dwordx2 s[2:3], s[4:5], 0x38
	v_lshlrev_b64 v[4:5], 4, v[4:5]
	v_mad_u64_u32 v[7:8], null, s1, v44, v[7:8]
	v_mul_f64 v[8:9], v[225:226], v[14:15]
	v_lshlrev_b64 v[6:7], 4, v[6:7]
	s_waitcnt lgkmcnt(0)
	v_add_co_u32 v4, vcc_lo, s2, v4
	v_add_co_ci_u32_e32 v5, vcc_lo, s3, v5, vcc_lo
	s_lshl_b64 s[2:3], s[0:1], 13
	v_add_co_u32 v61, vcc_lo, v4, v6
	v_add_co_ci_u32_e32 v62, vcc_lo, v5, v7, vcc_lo
	s_mul_i32 s1, s1, 0xffff7000
	v_fma_f64 v[47:48], v[223:224], v[12:13], v[8:9]
	s_clause 0x3
	buffer_load_dword v12, off, s[20:23], 0 offset:16
	buffer_load_dword v13, off, s[20:23], 0 offset:20
	;; [unrolled: 1-line block ×4, first 2 shown]
	v_add_co_u32 v63, vcc_lo, v61, s2
	v_add_co_ci_u32_e32 v64, vcc_lo, s3, v62, vcc_lo
	v_add_co_u32 v69, vcc_lo, v63, s2
	v_add_co_ci_u32_e32 v70, vcc_lo, s3, v64, vcc_lo
	;; [unrolled: 2-line block ×5, first 2 shown]
	v_mad_u64_u32 v[85:86], null, 0xffff7000, s0, v[79:80]
	s_sub_i32 s0, s1, s0
	v_add_nc_u32_e32 v86, s0, v86
	s_mov_b32 s0, 0x55555555
	s_mov_b32 s1, 0x3f355555
	v_add_co_u32 v87, vcc_lo, v85, s2
	v_add_co_ci_u32_e32 v88, vcc_lo, s3, v86, vcc_lo
	v_add_co_u32 v89, vcc_lo, v87, s2
	v_add_co_ci_u32_e32 v90, vcc_lo, s3, v88, vcc_lo
	s_waitcnt vmcnt(2)
	v_mov_b32_e32 v68, v13
	s_waitcnt vmcnt(0)
	v_mul_f64 v[8:9], v[14:15], v[18:19]
	v_mul_f64 v[10:11], v[14:15], v[16:17]
	v_mov_b32_e32 v67, v12
	s_clause 0x3
	buffer_load_dword v12, off, s[20:23], 0 offset:48
	buffer_load_dword v13, off, s[20:23], 0 offset:52
	;; [unrolled: 1-line block ×4, first 2 shown]
	v_fma_f64 v[65:66], v[67:68], v[16:17], v[8:9]
	v_fma_f64 v[67:68], v[67:68], v[18:19], -v[10:11]
	v_mul_f64 v[16:17], v[49:50], s[0:1]
	v_mul_f64 v[18:19], v[51:52], s[0:1]
	s_waitcnt vmcnt(0)
	v_mul_f64 v[4:5], v[14:15], v[2:3]
	v_mul_f64 v[6:7], v[14:15], v[0:1]
	v_mov_b32_e32 v76, v13
	v_mov_b32_e32 v75, v12
	s_clause 0x3
	buffer_load_dword v12, off, s[20:23], 0 offset:32
	buffer_load_dword v13, off, s[20:23], 0 offset:36
	;; [unrolled: 1-line block ×4, first 2 shown]
	v_fma_f64 v[73:74], v[75:76], v[0:1], v[4:5]
	v_fma_f64 v[75:76], v[75:76], v[2:3], -v[6:7]
	s_clause 0x3
	buffer_load_dword v4, off, s[20:23], 0
	buffer_load_dword v5, off, s[20:23], 0 offset:4
	buffer_load_dword v6, off, s[20:23], 0 offset:8
	;; [unrolled: 1-line block ×3, first 2 shown]
	s_waitcnt vmcnt(4)
	v_mul_f64 v[8:9], v[14:15], v[22:23]
	v_mul_f64 v[10:11], v[14:15], v[20:21]
	;; [unrolled: 1-line block ×3, first 2 shown]
	s_waitcnt vmcnt(0)
	v_mul_f64 v[0:1], v[6:7], v[26:27]
	v_mul_f64 v[2:3], v[6:7], v[24:25]
	v_fma_f64 v[81:82], v[12:13], v[20:21], v[8:9]
	v_fma_f64 v[83:84], v[12:13], v[22:23], -v[10:11]
	v_mul_f64 v[6:7], v[34:35], s[0:1]
	v_mul_f64 v[8:9], v[36:37], s[0:1]
	;; [unrolled: 1-line block ×9, first 2 shown]
	v_fma_f64 v[91:92], v[4:5], v[24:25], v[0:1]
	v_fma_f64 v[93:94], v[4:5], v[26:27], -v[2:3]
	v_mul_f64 v[0:1], v[28:29], s[0:1]
	v_mul_f64 v[2:3], v[30:31], s[0:1]
	;; [unrolled: 1-line block ×10, first 2 shown]
	v_add_co_u32 v48, vcc_lo, v89, s2
	v_add_co_ci_u32_e32 v49, vcc_lo, s3, v90, vcc_lo
	v_add_co_u32 v50, vcc_lo, v48, s2
	v_add_co_ci_u32_e32 v51, vcc_lo, s3, v49, vcc_lo
	v_mul_f64 v[44:45], v[91:92], s[0:1]
	v_mul_f64 v[46:47], v[93:94], s[0:1]
	v_add_co_u32 v52, vcc_lo, v50, s2
	v_add_co_ci_u32_e32 v53, vcc_lo, s3, v51, vcc_lo
	global_store_dwordx4 v[61:62], v[0:3], off
	global_store_dwordx4 v[63:64], v[4:7], off
	;; [unrolled: 1-line block ×12, first 2 shown]
.LBB0_2:
	s_endpgm
	.section	.rodata,"a",@progbits
	.p2align	6, 0x0
	.amdhsa_kernel bluestein_single_fwd_len3072_dim1_dp_op_CI_CI
		.amdhsa_group_segment_fixed_size 49152
		.amdhsa_private_segment_fixed_size 168
		.amdhsa_kernarg_size 104
		.amdhsa_user_sgpr_count 6
		.amdhsa_user_sgpr_private_segment_buffer 1
		.amdhsa_user_sgpr_dispatch_ptr 0
		.amdhsa_user_sgpr_queue_ptr 0
		.amdhsa_user_sgpr_kernarg_segment_ptr 1
		.amdhsa_user_sgpr_dispatch_id 0
		.amdhsa_user_sgpr_flat_scratch_init 0
		.amdhsa_user_sgpr_private_segment_size 0
		.amdhsa_wavefront_size32 1
		.amdhsa_uses_dynamic_stack 0
		.amdhsa_system_sgpr_private_segment_wavefront_offset 1
		.amdhsa_system_sgpr_workgroup_id_x 1
		.amdhsa_system_sgpr_workgroup_id_y 0
		.amdhsa_system_sgpr_workgroup_id_z 0
		.amdhsa_system_sgpr_workgroup_info 0
		.amdhsa_system_vgpr_workitem_id 0
		.amdhsa_next_free_vgpr 256
		.amdhsa_next_free_sgpr 24
		.amdhsa_reserve_vcc 1
		.amdhsa_reserve_flat_scratch 0
		.amdhsa_float_round_mode_32 0
		.amdhsa_float_round_mode_16_64 0
		.amdhsa_float_denorm_mode_32 3
		.amdhsa_float_denorm_mode_16_64 3
		.amdhsa_dx10_clamp 1
		.amdhsa_ieee_mode 1
		.amdhsa_fp16_overflow 0
		.amdhsa_workgroup_processor_mode 1
		.amdhsa_memory_ordered 1
		.amdhsa_forward_progress 0
		.amdhsa_shared_vgpr_count 0
		.amdhsa_exception_fp_ieee_invalid_op 0
		.amdhsa_exception_fp_denorm_src 0
		.amdhsa_exception_fp_ieee_div_zero 0
		.amdhsa_exception_fp_ieee_overflow 0
		.amdhsa_exception_fp_ieee_underflow 0
		.amdhsa_exception_fp_ieee_inexact 0
		.amdhsa_exception_int_div_zero 0
	.end_amdhsa_kernel
	.text
.Lfunc_end0:
	.size	bluestein_single_fwd_len3072_dim1_dp_op_CI_CI, .Lfunc_end0-bluestein_single_fwd_len3072_dim1_dp_op_CI_CI
                                        ; -- End function
	.section	.AMDGPU.csdata,"",@progbits
; Kernel info:
; codeLenInByte = 15992
; NumSgprs: 26
; NumVgprs: 256
; ScratchSize: 168
; MemoryBound: 0
; FloatMode: 240
; IeeeMode: 1
; LDSByteSize: 49152 bytes/workgroup (compile time only)
; SGPRBlocks: 3
; VGPRBlocks: 31
; NumSGPRsForWavesPerEU: 26
; NumVGPRsForWavesPerEU: 256
; Occupancy: 4
; WaveLimiterHint : 1
; COMPUTE_PGM_RSRC2:SCRATCH_EN: 1
; COMPUTE_PGM_RSRC2:USER_SGPR: 6
; COMPUTE_PGM_RSRC2:TRAP_HANDLER: 0
; COMPUTE_PGM_RSRC2:TGID_X_EN: 1
; COMPUTE_PGM_RSRC2:TGID_Y_EN: 0
; COMPUTE_PGM_RSRC2:TGID_Z_EN: 0
; COMPUTE_PGM_RSRC2:TIDIG_COMP_CNT: 0
	.text
	.p2alignl 6, 3214868480
	.fill 48, 4, 3214868480
	.type	__hip_cuid_fed01f64ff2559b3,@object ; @__hip_cuid_fed01f64ff2559b3
	.section	.bss,"aw",@nobits
	.globl	__hip_cuid_fed01f64ff2559b3
__hip_cuid_fed01f64ff2559b3:
	.byte	0                               ; 0x0
	.size	__hip_cuid_fed01f64ff2559b3, 1

	.ident	"AMD clang version 19.0.0git (https://github.com/RadeonOpenCompute/llvm-project roc-6.4.0 25133 c7fe45cf4b819c5991fe208aaa96edf142730f1d)"
	.section	".note.GNU-stack","",@progbits
	.addrsig
	.addrsig_sym __hip_cuid_fed01f64ff2559b3
	.amdgpu_metadata
---
amdhsa.kernels:
  - .args:
      - .actual_access:  read_only
        .address_space:  global
        .offset:         0
        .size:           8
        .value_kind:     global_buffer
      - .actual_access:  read_only
        .address_space:  global
        .offset:         8
        .size:           8
        .value_kind:     global_buffer
      - .actual_access:  read_only
        .address_space:  global
        .offset:         16
        .size:           8
        .value_kind:     global_buffer
      - .actual_access:  read_only
        .address_space:  global
        .offset:         24
        .size:           8
        .value_kind:     global_buffer
      - .actual_access:  read_only
        .address_space:  global
        .offset:         32
        .size:           8
        .value_kind:     global_buffer
      - .offset:         40
        .size:           8
        .value_kind:     by_value
      - .address_space:  global
        .offset:         48
        .size:           8
        .value_kind:     global_buffer
      - .address_space:  global
        .offset:         56
        .size:           8
        .value_kind:     global_buffer
      - .address_space:  global
        .offset:         64
        .size:           8
        .value_kind:     global_buffer
      - .address_space:  global
        .offset:         72
        .size:           8
        .value_kind:     global_buffer
      - .offset:         80
        .size:           4
        .value_kind:     by_value
      - .address_space:  global
        .offset:         88
        .size:           8
        .value_kind:     global_buffer
      - .address_space:  global
        .offset:         96
        .size:           8
        .value_kind:     global_buffer
    .group_segment_fixed_size: 49152
    .kernarg_segment_align: 8
    .kernarg_segment_size: 104
    .language:       OpenCL C
    .language_version:
      - 2
      - 0
    .max_flat_workgroup_size: 256
    .name:           bluestein_single_fwd_len3072_dim1_dp_op_CI_CI
    .private_segment_fixed_size: 168
    .sgpr_count:     26
    .sgpr_spill_count: 0
    .symbol:         bluestein_single_fwd_len3072_dim1_dp_op_CI_CI.kd
    .uniform_work_group_size: 1
    .uses_dynamic_stack: false
    .vgpr_count:     256
    .vgpr_spill_count: 41
    .wavefront_size: 32
    .workgroup_processor_mode: 1
amdhsa.target:   amdgcn-amd-amdhsa--gfx1030
amdhsa.version:
  - 1
  - 2
...

	.end_amdgpu_metadata
